;; amdgpu-corpus repo=ROCm/rocFFT kind=compiled arch=gfx906 opt=O3
	.text
	.amdgcn_target "amdgcn-amd-amdhsa--gfx906"
	.amdhsa_code_object_version 6
	.protected	bluestein_single_back_len1144_dim1_sp_op_CI_CI ; -- Begin function bluestein_single_back_len1144_dim1_sp_op_CI_CI
	.globl	bluestein_single_back_len1144_dim1_sp_op_CI_CI
	.p2align	8
	.type	bluestein_single_back_len1144_dim1_sp_op_CI_CI,@function
bluestein_single_back_len1144_dim1_sp_op_CI_CI: ; @bluestein_single_back_len1144_dim1_sp_op_CI_CI
; %bb.0:
	s_load_dwordx4 s[0:3], s[4:5], 0x28
	v_mul_u32_u24_e32 v1, 0x277, v0
	v_add_u32_sdwa v80, s6, v1 dst_sel:DWORD dst_unused:UNUSED_PAD src0_sel:DWORD src1_sel:WORD_1
	v_mov_b32_e32 v81, 0
	s_waitcnt lgkmcnt(0)
	v_cmp_gt_u64_e32 vcc, s[0:1], v[80:81]
	s_and_saveexec_b64 s[0:1], vcc
	s_cbranch_execz .LBB0_23
; %bb.1:
	s_load_dwordx2 s[10:11], s[4:5], 0x0
	s_load_dwordx2 s[8:9], s[4:5], 0x38
	s_movk_i32 s0, 0x68
	v_mul_lo_u16_sdwa v1, v1, s0 dst_sel:DWORD dst_unused:UNUSED_PAD src0_sel:WORD_1 src1_sel:DWORD
	v_sub_u16_e32 v86, v0, v1
	s_movk_i32 s0, 0x58
	v_cmp_gt_u16_e64 s[0:1], s0, v86
	v_lshlrev_b32_e32 v85, 3, v86
	s_and_saveexec_b64 s[6:7], s[0:1]
	s_cbranch_execz .LBB0_3
; %bb.2:
	s_load_dwordx2 s[12:13], s[4:5], 0x18
	s_waitcnt lgkmcnt(0)
	s_load_dwordx4 s[12:15], s[12:13], 0x0
	s_waitcnt lgkmcnt(0)
	v_mad_u64_u32 v[0:1], s[16:17], s14, v80, 0
	v_mad_u64_u32 v[2:3], s[16:17], s12, v86, 0
	;; [unrolled: 1-line block ×4, first 2 shown]
	v_mov_b32_e32 v1, v4
	v_lshlrev_b64 v[0:1], 3, v[0:1]
	v_mov_b32_e32 v3, v5
	v_mov_b32_e32 v6, s3
	v_lshlrev_b64 v[2:3], 3, v[2:3]
	v_add_co_u32_e32 v0, vcc, s2, v0
	v_addc_co_u32_e32 v1, vcc, v6, v1, vcc
	v_add_co_u32_e32 v0, vcc, v0, v2
	v_addc_co_u32_e32 v1, vcc, v1, v3, vcc
	v_mov_b32_e32 v2, s11
	v_add_co_u32_e32 v52, vcc, s10, v85
	s_mul_i32 s2, s13, 0x2c0
	s_mul_hi_u32 s3, s12, 0x2c0
	v_addc_co_u32_e32 v53, vcc, 0, v2, vcc
	s_add_i32 s2, s3, s2
	s_mul_i32 s3, s12, 0x2c0
	v_mov_b32_e32 v3, s2
	v_add_co_u32_e32 v2, vcc, s3, v0
	v_addc_co_u32_e32 v3, vcc, v1, v3, vcc
	v_mov_b32_e32 v5, s2
	v_add_co_u32_e32 v4, vcc, s3, v2
	v_addc_co_u32_e32 v5, vcc, v3, v5, vcc
	v_mov_b32_e32 v13, s2
	v_add_co_u32_e32 v12, vcc, s3, v4
	v_addc_co_u32_e32 v13, vcc, v5, v13, vcc
	global_load_dwordx2 v[6:7], v85, s[10:11]
	global_load_dwordx2 v[8:9], v85, s[10:11] offset:704
	global_load_dwordx2 v[10:11], v85, s[10:11] offset:1408
	global_load_dwordx2 v[14:15], v[0:1], off
	global_load_dwordx2 v[16:17], v[2:3], off
	;; [unrolled: 1-line block ×4, first 2 shown]
	v_mov_b32_e32 v1, s2
	v_add_co_u32_e32 v0, vcc, s3, v12
	v_addc_co_u32_e32 v1, vcc, v13, v1, vcc
	global_load_dwordx2 v[2:3], v[0:1], off
	v_mov_b32_e32 v4, s2
	v_add_co_u32_e32 v0, vcc, s3, v0
	v_addc_co_u32_e32 v1, vcc, v1, v4, vcc
	global_load_dwordx2 v[4:5], v[0:1], off
	global_load_dwordx2 v[12:13], v85, s[10:11] offset:2112
	global_load_dwordx2 v[22:23], v85, s[10:11] offset:2816
	;; [unrolled: 1-line block ×3, first 2 shown]
	v_mov_b32_e32 v26, s2
	v_add_co_u32_e32 v0, vcc, s3, v0
	v_addc_co_u32_e32 v1, vcc, v1, v26, vcc
	s_movk_i32 s12, 0x1000
	v_add_co_u32_e32 v28, vcc, s12, v52
	v_addc_co_u32_e32 v29, vcc, 0, v53, vcc
	global_load_dwordx2 v[26:27], v[0:1], off
	v_mov_b32_e32 v30, s2
	v_add_co_u32_e32 v0, vcc, s3, v0
	v_addc_co_u32_e32 v1, vcc, v1, v30, vcc
	global_load_dwordx2 v[30:31], v[0:1], off
	v_mov_b32_e32 v32, s2
	;; [unrolled: 4-line block ×3, first 2 shown]
	v_add_co_u32_e32 v0, vcc, s3, v0
	v_addc_co_u32_e32 v1, vcc, v1, v34, vcc
	global_load_dwordx2 v[34:35], v[28:29], off offset:128
	global_load_dwordx2 v[36:37], v[0:1], off
	global_load_dwordx2 v[38:39], v[28:29], off offset:832
	global_load_dwordx2 v[40:41], v[28:29], off offset:1536
	global_load_dwordx2 v[42:43], v[28:29], off offset:2240
	v_mov_b32_e32 v44, s2
	v_add_co_u32_e32 v0, vcc, s3, v0
	v_addc_co_u32_e32 v1, vcc, v1, v44, vcc
	global_load_dwordx2 v[44:45], v[0:1], off
	v_mov_b32_e32 v46, s2
	v_add_co_u32_e32 v0, vcc, s3, v0
	v_addc_co_u32_e32 v1, vcc, v1, v46, vcc
	global_load_dwordx2 v[46:47], v[0:1], off
	global_load_dwordx2 v[48:49], v[28:29], off offset:2944
	global_load_dwordx2 v[50:51], v[28:29], off offset:3648
	v_mov_b32_e32 v28, s2
	v_add_co_u32_e32 v0, vcc, s3, v0
	v_addc_co_u32_e32 v1, vcc, v1, v28, vcc
	v_add_co_u32_e32 v28, vcc, 0x2000, v52
	v_addc_co_u32_e32 v29, vcc, 0, v53, vcc
	global_load_dwordx2 v[0:1], v[0:1], off
	s_waitcnt vmcnt(21)
	v_mul_f32_e32 v52, v15, v7
	global_load_dwordx2 v[28:29], v[28:29], off offset:256
	v_mul_f32_e32 v7, v14, v7
	v_fmac_f32_e32 v52, v14, v6
	v_fma_f32 v53, v15, v6, -v7
	s_waitcnt vmcnt(21)
	v_mul_f32_e32 v6, v17, v9
	v_mul_f32_e32 v7, v16, v9
	v_fmac_f32_e32 v6, v16, v8
	v_fma_f32 v7, v17, v8, -v7
	ds_write2_b64 v85, v[52:53], v[6:7] offset1:88
	s_waitcnt vmcnt(20)
	v_mul_f32_e32 v6, v19, v11
	v_mul_f32_e32 v7, v18, v11
	v_fmac_f32_e32 v6, v18, v10
	s_waitcnt vmcnt(16)
	v_mul_f32_e32 v8, v21, v13
	v_mul_f32_e32 v9, v20, v13
	v_fma_f32 v7, v19, v10, -v7
	v_fmac_f32_e32 v8, v20, v12
	v_fma_f32 v9, v21, v12, -v9
	v_add_u32_e32 v10, 0x400, v85
	ds_write2_b64 v10, v[6:7], v[8:9] offset0:48 offset1:136
	s_waitcnt vmcnt(15)
	v_mul_f32_e32 v6, v3, v23
	v_fmac_f32_e32 v6, v2, v22
	v_mul_f32_e32 v2, v2, v23
	v_fma_f32 v7, v3, v22, -v2
	s_waitcnt vmcnt(14)
	v_mul_f32_e32 v2, v5, v25
	v_mul_f32_e32 v3, v4, v25
	v_fmac_f32_e32 v2, v4, v24
	v_fma_f32 v3, v5, v24, -v3
	v_add_u32_e32 v4, 0x800, v85
	ds_write2_b64 v4, v[6:7], v[2:3] offset0:96 offset1:184
	v_add_u32_e32 v6, 0x1000, v85
	s_waitcnt vmcnt(10)
	v_mul_f32_e32 v2, v27, v35
	v_mul_f32_e32 v3, v26, v35
	s_waitcnt vmcnt(8)
	v_mul_f32_e32 v4, v31, v39
	v_mul_f32_e32 v5, v30, v39
	v_fmac_f32_e32 v2, v26, v34
	v_fma_f32 v3, v27, v34, -v3
	v_fmac_f32_e32 v4, v30, v38
	v_fma_f32 v5, v31, v38, -v5
	ds_write2_b64 v6, v[2:3], v[4:5] offset0:16 offset1:104
	s_waitcnt vmcnt(7)
	v_mul_f32_e32 v2, v33, v41
	v_mul_f32_e32 v3, v32, v41
	s_waitcnt vmcnt(6)
	v_mul_f32_e32 v4, v37, v43
	v_mul_f32_e32 v5, v36, v43
	v_fmac_f32_e32 v2, v32, v40
	v_fma_f32 v3, v33, v40, -v3
	v_fmac_f32_e32 v4, v36, v42
	v_fma_f32 v5, v37, v42, -v5
	v_add_u32_e32 v6, 0x1400, v85
	ds_write2_b64 v6, v[2:3], v[4:5] offset0:64 offset1:152
	s_waitcnt vmcnt(3)
	v_mul_f32_e32 v2, v45, v49
	v_mul_f32_e32 v3, v44, v49
	s_waitcnt vmcnt(2)
	v_mul_f32_e32 v4, v47, v51
	v_mul_f32_e32 v5, v46, v51
	v_fmac_f32_e32 v2, v44, v48
	v_fma_f32 v3, v45, v48, -v3
	v_fmac_f32_e32 v4, v46, v50
	v_fma_f32 v5, v47, v50, -v5
	v_add_u32_e32 v6, 0x1800, v85
	ds_write2_b64 v6, v[2:3], v[4:5] offset0:112 offset1:200
	s_waitcnt vmcnt(0)
	v_mul_f32_e32 v2, v1, v29
	v_fmac_f32_e32 v2, v0, v28
	v_mul_f32_e32 v0, v0, v29
	v_fma_f32 v3, v1, v28, -v0
	ds_write_b64 v85, v[2:3] offset:8448
.LBB0_3:
	s_or_b64 exec, exec, s[6:7]
	s_load_dwordx2 s[2:3], s[4:5], 0x20
	s_load_dwordx2 s[12:13], s[4:5], 0x8
	v_mov_b32_e32 v0, 0
	v_mov_b32_e32 v1, 0
	s_waitcnt lgkmcnt(0)
	s_barrier
	s_waitcnt lgkmcnt(0)
                                        ; implicit-def: $vgpr6
                                        ; implicit-def: $vgpr24
                                        ; implicit-def: $vgpr22
                                        ; implicit-def: $vgpr18
                                        ; implicit-def: $vgpr14
                                        ; implicit-def: $vgpr10
	s_and_saveexec_b64 s[4:5], s[0:1]
	s_cbranch_execz .LBB0_5
; %bb.4:
	v_add_u32_e32 v4, 0x400, v85
	ds_read2_b64 v[8:11], v4 offset0:48 offset1:136
	v_add_u32_e32 v4, 0x800, v85
	ds_read2_b64 v[12:15], v4 offset0:96 offset1:184
	v_add_u32_e32 v4, 0x1000, v85
	v_add_u32_e32 v16, 0x1400, v85
	v_add_u32_e32 v20, 0x1800, v85
	ds_read2_b64 v[0:3], v85 offset1:88
	ds_read2_b64 v[4:7], v4 offset0:16 offset1:104
	ds_read2_b64 v[16:19], v16 offset0:64 offset1:152
	;; [unrolled: 1-line block ×3, first 2 shown]
	ds_read_b64 v[24:25], v85 offset:8448
.LBB0_5:
	s_or_b64 exec, exec, s[4:5]
	s_waitcnt lgkmcnt(0)
	v_sub_f32_e32 v68, v3, v25
	v_mul_f32_e32 v33, 0xbeedf032, v68
	v_add_f32_e32 v26, v24, v2
	v_sub_f32_e32 v53, v2, v24
	v_mov_b32_e32 v28, v33
	v_add_f32_e32 v27, v25, v3
	s_mov_b32 s6, 0x3f62ad3f
	v_mul_f32_e32 v37, 0xbeedf032, v53
	v_fmac_f32_e32 v28, 0x3f62ad3f, v26
	v_sub_f32_e32 v73, v9, v23
	v_add_f32_e32 v30, v28, v0
	v_fma_f32 v28, v27, s6, -v37
	v_mul_f32_e32 v36, 0xbf52af12, v73
	v_add_f32_e32 v31, v28, v1
	v_add_f32_e32 v28, v22, v8
	v_sub_f32_e32 v54, v8, v22
	v_mov_b32_e32 v32, v36
	s_mov_b32 s7, 0x3f116cb1
	v_add_f32_e32 v29, v23, v9
	v_mul_f32_e32 v41, 0xbf52af12, v54
	v_fmac_f32_e32 v32, 0x3f116cb1, v28
	v_sub_f32_e32 v74, v11, v21
	v_add_f32_e32 v32, v32, v30
	v_fma_f32 v30, v29, s7, -v41
	v_mul_f32_e32 v40, 0xbf7e222b, v74
	v_add_f32_e32 v34, v30, v31
	v_add_f32_e32 v30, v20, v10
	v_sub_f32_e32 v56, v10, v20
	v_mov_b32_e32 v35, v40
	v_add_f32_e32 v31, v21, v11
	s_mov_b32 s15, 0x3df6dbef
	v_mul_f32_e32 v46, 0xbf7e222b, v56
	v_fmac_f32_e32 v35, 0x3df6dbef, v30
	v_sub_f32_e32 v75, v13, v19
	v_add_f32_e32 v38, v35, v32
	v_fma_f32 v32, v31, s15, -v46
	v_mul_f32_e32 v43, 0xbf6f5d39, v75
	v_add_f32_e32 v34, v32, v34
	v_add_f32_e32 v32, v18, v12
	v_sub_f32_e32 v57, v12, v18
	v_mov_b32_e32 v39, v43
	s_mov_b32 s14, 0xbeb58ec6
	v_add_f32_e32 v35, v19, v13
	v_mul_f32_e32 v48, 0xbf6f5d39, v57
	v_fmac_f32_e32 v39, 0xbeb58ec6, v32
	v_sub_f32_e32 v76, v15, v17
	v_add_f32_e32 v38, v39, v38
	v_fma_f32 v39, v35, s14, -v48
	v_mul_f32_e32 v47, 0xbf29c268, v76
	v_add_f32_e32 v42, v39, v34
	v_add_f32_e32 v34, v16, v14
	v_sub_f32_e32 v61, v14, v16
	v_mov_b32_e32 v44, v47
	s_mov_b32 s17, 0xbf3f9e67
	v_add_f32_e32 v39, v17, v15
	v_mul_f32_e32 v52, 0xbf29c268, v61
	v_fmac_f32_e32 v44, 0xbf3f9e67, v34
	v_sub_f32_e32 v77, v5, v7
	v_add_f32_e32 v44, v44, v38
	v_fma_f32 v38, v39, s17, -v52
	v_mul_f32_e32 v49, 0xbe750f2a, v77
	v_add_f32_e32 v45, v38, v42
	v_add_f32_e32 v38, v6, v4
	v_mov_b32_e32 v50, v49
	v_sub_f32_e32 v67, v4, v6
	s_mov_b32 s16, 0xbf788fa5
	v_fmac_f32_e32 v50, 0xbf788fa5, v38
	v_add_f32_e32 v42, v7, v5
	v_mul_f32_e32 v55, 0xbe750f2a, v67
	v_mul_f32_e32 v58, 0xbf52af12, v68
	v_fma_f32 v51, v42, s16, -v55
	v_add_f32_e32 v44, v50, v44
	v_mov_b32_e32 v50, v58
	v_mul_f32_e32 v59, 0xbf6f5d39, v73
	v_add_f32_e32 v45, v51, v45
	v_fmac_f32_e32 v50, 0x3f116cb1, v26
	v_mov_b32_e32 v51, v59
	v_add_f32_e32 v50, v50, v0
	v_fmac_f32_e32 v51, 0xbeb58ec6, v28
	v_mul_f32_e32 v65, 0xbf52af12, v53
	v_add_f32_e32 v50, v51, v50
	v_fma_f32 v51, v27, s7, -v65
	v_mul_f32_e32 v66, 0xbf6f5d39, v54
	v_add_f32_e32 v51, v51, v1
	v_fma_f32 v60, v29, s14, -v66
	v_add_f32_e32 v51, v60, v51
	v_mul_f32_e32 v60, 0xbe750f2a, v74
	v_mov_b32_e32 v62, v60
	v_fmac_f32_e32 v62, 0xbf788fa5, v30
	v_mul_f32_e32 v69, 0xbe750f2a, v56
	v_add_f32_e32 v50, v62, v50
	v_fma_f32 v62, v31, s16, -v69
	v_add_f32_e32 v51, v62, v51
	v_mul_f32_e32 v62, 0x3f29c268, v75
	v_mov_b32_e32 v63, v62
	v_fmac_f32_e32 v63, 0xbf3f9e67, v32
	;; [unrolled: 7-line block ×3, first 2 shown]
	v_mul_f32_e32 v71, 0x3f7e222b, v61
	v_add_f32_e32 v50, v64, v50
	v_fma_f32 v64, v39, s15, -v71
	v_add_f32_e32 v51, v64, v51
	v_mul_f32_e32 v64, 0x3eedf032, v77
	v_mov_b32_e32 v78, v64
	v_mul_f32_e32 v72, 0x3eedf032, v67
	v_fmac_f32_e32 v78, 0x3f62ad3f, v38
	v_fma_f32 v79, v42, s6, -v72
	v_add_f32_e32 v50, v78, v50
	v_add_f32_e32 v51, v79, v51
	v_mul_lo_u16_e32 v87, 13, v86
	s_barrier
	s_and_saveexec_b64 s[4:5], s[0:1]
	s_cbranch_execz .LBB0_7
; %bb.6:
	v_mul_f32_e32 v90, 0x3df6dbef, v27
	v_mov_b32_e32 v78, v90
	v_mul_f32_e32 v91, 0xbf788fa5, v29
	v_fmac_f32_e32 v78, 0x3f7e222b, v53
	v_mov_b32_e32 v79, v91
	v_add_f32_e32 v78, v78, v1
	v_fmac_f32_e32 v79, 0x3e750f2a, v54
	v_mul_f32_e32 v92, 0xbeb58ec6, v31
	v_add_f32_e32 v78, v79, v78
	v_mov_b32_e32 v79, v92
	v_fmac_f32_e32 v79, 0xbf6f5d39, v56
	v_mul_f32_e32 v93, 0x3f62ad3f, v35
	v_add_f32_e32 v78, v79, v78
	v_mov_b32_e32 v79, v93
	;; [unrolled: 4-line block ×4, first 2 shown]
	v_mul_f32_e32 v96, 0xbe750f2a, v73
	v_fmac_f32_e32 v79, 0x3df6dbef, v26
	v_mov_b32_e32 v81, v96
	v_add_f32_e32 v79, v79, v0
	v_fmac_f32_e32 v81, 0xbf788fa5, v28
	v_mul_f32_e32 v97, 0x3f6f5d39, v74
	v_add_f32_e32 v79, v81, v79
	v_mov_b32_e32 v81, v97
	v_fmac_f32_e32 v81, 0xbeb58ec6, v30
	v_mul_f32_e32 v98, 0x3eedf032, v75
	v_add_f32_e32 v79, v81, v79
	v_mov_b32_e32 v81, v98
	;; [unrolled: 4-line block ×6, first 2 shown]
	v_mul_f32_e32 v89, 0xbf3f9e67, v29
	v_fmac_f32_e32 v81, 0x3f6f5d39, v53
	v_mov_b32_e32 v82, v89
	v_add_f32_e32 v81, v81, v1
	v_fmac_f32_e32 v82, 0xbf29c268, v54
	v_mul_f32_e32 v102, 0x3f62ad3f, v31
	v_add_f32_e32 v81, v82, v81
	v_mov_b32_e32 v82, v102
	v_fmac_f32_e32 v82, 0xbeedf032, v56
	v_mul_f32_e32 v103, 0x3df6dbef, v35
	v_add_f32_e32 v81, v82, v81
	v_mov_b32_e32 v82, v103
	;; [unrolled: 4-line block ×4, first 2 shown]
	v_mul_f32_e32 v106, 0x3f29c268, v73
	v_fmac_f32_e32 v82, 0xbeb58ec6, v26
	v_mov_b32_e32 v83, v106
	v_add_f32_e32 v82, v82, v0
	v_fmac_f32_e32 v83, 0xbf3f9e67, v28
	v_mul_f32_e32 v107, 0x3eedf032, v74
	v_add_f32_e32 v82, v83, v82
	v_mov_b32_e32 v83, v107
	v_fmac_f32_e32 v83, 0x3f62ad3f, v30
	v_mul_f32_e32 v108, 0xbf7e222b, v75
	v_add_f32_e32 v82, v83, v82
	v_mov_b32_e32 v83, v108
	;; [unrolled: 4-line block ×6, first 2 shown]
	v_mul_f32_e32 v113, 0x3df6dbef, v29
	v_fmac_f32_e32 v83, 0x3f29c268, v53
	v_mov_b32_e32 v84, v113
	v_add_f32_e32 v83, v83, v1
	v_fmac_f32_e32 v84, 0xbf7e222b, v54
	v_mul_f32_e32 v114, 0x3f116cb1, v31
	v_add_f32_e32 v83, v84, v83
	v_mov_b32_e32 v84, v114
	v_fmac_f32_e32 v84, 0x3f52af12, v56
	v_mul_f32_e32 v115, 0xbf788fa5, v35
	v_add_f32_e32 v83, v84, v83
	v_mov_b32_e32 v84, v115
	;; [unrolled: 4-line block ×4, first 2 shown]
	v_mul_f32_e32 v118, 0x3f7e222b, v73
	v_fmac_f32_e32 v84, 0xbf3f9e67, v26
	v_mov_b32_e32 v119, v118
	v_add_f32_e32 v84, v84, v0
	v_fmac_f32_e32 v119, 0x3df6dbef, v28
	v_add_f32_e32 v84, v119, v84
	v_mul_f32_e32 v119, 0xbf52af12, v74
	v_mov_b32_e32 v120, v119
	v_fmac_f32_e32 v120, 0x3f116cb1, v30
	v_add_f32_e32 v84, v120, v84
	v_mul_f32_e32 v120, 0x3e750f2a, v75
	v_mov_b32_e32 v121, v120
	;; [unrolled: 4-line block ×3, first 2 shown]
	v_fmac_f32_e32 v122, 0x3f62ad3f, v34
	v_mul_f32_e32 v123, 0xbeb58ec6, v42
	v_add_f32_e32 v122, v122, v84
	v_mov_b32_e32 v84, v123
	v_fmac_f32_e32 v84, 0x3f6f5d39, v67
	v_mul_f32_e32 v124, 0xbf6f5d39, v77
	v_add_f32_e32 v84, v84, v83
	v_mov_b32_e32 v83, v124
	v_fmac_f32_e32 v83, 0xbeb58ec6, v38
	v_add_f32_e32 v83, v83, v122
	v_mul_f32_e32 v122, 0xbe750f2a, v53
	v_mov_b32_e32 v125, v122
	v_mul_f32_e32 v126, 0x3eedf032, v54
	v_fmac_f32_e32 v125, 0xbf788fa5, v27
	v_mov_b32_e32 v127, v126
	v_add_f32_e32 v125, v125, v1
	v_fmac_f32_e32 v127, 0x3f62ad3f, v29
	v_fmac_f32_e32 v90, 0xbf7e222b, v53
	v_add_f32_e32 v125, v127, v125
	v_mul_f32_e32 v127, 0xbf29c268, v56
	v_fmac_f32_e32 v112, 0xbf29c268, v53
	v_fmac_f32_e32 v113, 0x3f7e222b, v54
	;; [unrolled: 1-line block ×5, first 2 shown]
	v_add_f32_e32 v53, v90, v1
	v_fma_f32 v54, v26, s15, -v95
	v_mov_b32_e32 v128, v127
	v_fmac_f32_e32 v114, 0xbf52af12, v56
	v_fmac_f32_e32 v102, 0x3eedf032, v56
	v_add_f32_e32 v53, v91, v53
	v_fmac_f32_e32 v92, 0x3f6f5d39, v56
	v_add_f32_e32 v54, v54, v0
	v_fma_f32 v56, v28, s16, -v96
	v_fmac_f32_e32 v128, 0xbf3f9e67, v31
	v_add_f32_e32 v53, v92, v53
	v_fmac_f32_e32 v93, 0x3eedf032, v57
	v_add_f32_e32 v54, v56, v54
	v_fma_f32 v56, v30, s14, -v97
	v_add_f32_e32 v125, v128, v125
	v_mul_f32_e32 v128, 0x3f52af12, v57
	v_add_f32_e32 v53, v93, v53
	v_fmac_f32_e32 v94, 0xbf52af12, v61
	v_add_f32_e32 v54, v56, v54
	v_fma_f32 v56, v32, s6, -v98
	v_mov_b32_e32 v129, v128
	v_add_f32_e32 v53, v94, v53
	v_fmac_f32_e32 v100, 0xbf29c268, v67
	v_add_f32_e32 v54, v56, v54
	v_fma_f32 v56, v34, s7, -v99
	v_fmac_f32_e32 v129, 0x3f116cb1, v35
	v_add_f32_e32 v56, v56, v54
	v_add_f32_e32 v54, v100, v53
	v_fma_f32 v53, v38, s17, -v101
	v_add_f32_e32 v125, v129, v125
	v_mul_f32_e32 v129, 0xbf6f5d39, v61
	v_fmac_f32_e32 v116, 0x3eedf032, v61
	v_fmac_f32_e32 v104, 0x3e750f2a, v61
	v_add_f32_e32 v53, v53, v56
	v_mul_f32_e32 v56, 0x3f116cb1, v27
	v_mul_f32_e32 v61, 0x3f116cb1, v26
	v_fmac_f32_e32 v115, 0x3e750f2a, v57
	v_fmac_f32_e32 v103, 0xbf7e222b, v57
	v_add_f32_e32 v56, v65, v56
	v_mul_f32_e32 v57, 0xbeb58ec6, v29
	v_sub_f32_e32 v58, v61, v58
	v_mul_f32_e32 v61, 0xbeb58ec6, v28
	v_add_f32_e32 v57, v66, v57
	v_add_f32_e32 v56, v56, v1
	v_sub_f32_e32 v59, v61, v59
	v_add_f32_e32 v58, v58, v0
	v_add_f32_e32 v56, v57, v56
	v_mul_f32_e32 v57, 0xbf788fa5, v31
	v_add_f32_e32 v58, v59, v58
	v_mul_f32_e32 v59, 0xbf788fa5, v30
	v_add_f32_e32 v57, v69, v57
	v_sub_f32_e32 v59, v59, v60
	v_add_f32_e32 v56, v57, v56
	v_mul_f32_e32 v57, 0xbf3f9e67, v35
	v_add_f32_e32 v58, v59, v58
	v_mul_f32_e32 v59, 0xbf3f9e67, v32
	v_add_f32_e32 v57, v70, v57
	v_sub_f32_e32 v59, v59, v62
	;; [unrolled: 6-line block ×4, first 2 shown]
	v_add_f32_e32 v57, v57, v56
	v_add_f32_e32 v56, v59, v58
	v_mul_f32_e32 v58, 0x3f62ad3f, v27
	v_mov_b32_e32 v130, v129
	v_add_f32_e32 v37, v37, v58
	v_mul_f32_e32 v58, 0x3f116cb1, v29
	v_fmac_f32_e32 v130, 0xbeb58ec6, v39
	v_mul_f32_e32 v68, 0xbe750f2a, v68
	v_add_f32_e32 v41, v41, v58
	v_add_f32_e32 v37, v37, v1
	;; [unrolled: 1-line block ×3, first 2 shown]
	v_fma_f32 v130, v26, s16, -v68
	v_mul_f32_e32 v131, 0x3eedf032, v73
	v_add_f32_e32 v37, v41, v37
	v_mul_f32_e32 v41, 0x3df6dbef, v31
	v_add_f32_e32 v130, v130, v0
	v_fma_f32 v73, v28, s6, -v131
	v_add_f32_e32 v41, v46, v41
	v_mul_f32_e32 v46, 0x3f62ad3f, v26
	v_add_f32_e32 v3, v3, v1
	v_add_f32_e32 v2, v2, v0
	;; [unrolled: 1-line block ×3, first 2 shown]
	v_mul_f32_e32 v130, 0xbf29c268, v74
	v_sub_f32_e32 v33, v46, v33
	v_mul_f32_e32 v46, 0x3f116cb1, v28
	v_add_f32_e32 v3, v9, v3
	v_add_f32_e32 v2, v8, v2
	v_fma_f32 v74, v30, s17, -v130
	v_mul_f32_e32 v132, 0x3f52af12, v75
	v_sub_f32_e32 v36, v46, v36
	v_add_f32_e32 v33, v33, v0
	v_add_f32_e32 v3, v11, v3
	;; [unrolled: 1-line block ×4, first 2 shown]
	v_fma_f32 v74, v32, s7, -v132
	v_mul_f32_e32 v133, 0xbf6f5d39, v76
	v_add_f32_e32 v33, v36, v33
	v_mul_f32_e32 v36, 0x3df6dbef, v30
	v_add_f32_e32 v3, v13, v3
	v_add_f32_e32 v2, v12, v2
	;; [unrolled: 1-line block ×3, first 2 shown]
	v_fma_f32 v74, v34, s14, -v133
	v_mul_f32_e32 v77, 0x3f7e222b, v77
	v_sub_f32_e32 v36, v36, v40
	v_add_f32_e32 v3, v15, v3
	v_add_f32_e32 v2, v14, v2
	;; [unrolled: 1-line block ×3, first 2 shown]
	v_fma_f32 v75, v38, s15, -v77
	v_add_f32_e32 v88, v88, v1
	v_add_f32_e32 v37, v41, v37
	v_mul_f32_e32 v41, 0xbeb58ec6, v35
	v_add_f32_e32 v33, v36, v33
	v_mul_f32_e32 v36, 0xbeb58ec6, v32
	v_add_f32_e32 v3, v5, v3
	v_add_f32_e32 v2, v4, v2
	v_fma_f32 v4, v27, s16, -v122
	v_add_f32_e32 v73, v75, v73
	v_add_f32_e32 v75, v112, v1
	v_fma_f32 v76, v26, s17, -v117
	v_add_f32_e32 v88, v89, v88
	v_fma_f32 v89, v26, s14, -v105
	v_add_f32_e32 v41, v48, v41
	v_sub_f32_e32 v36, v36, v43
	v_add_f32_e32 v3, v7, v3
	v_add_f32_e32 v2, v6, v2
	;; [unrolled: 1-line block ×3, first 2 shown]
	v_fma_f32 v4, v29, s6, -v126
	v_fmac_f32_e32 v68, 0xbf788fa5, v26
	v_add_f32_e32 v75, v113, v75
	v_add_f32_e32 v76, v76, v0
	v_fma_f32 v112, v28, s15, -v118
	v_add_f32_e32 v88, v102, v88
	v_add_f32_e32 v89, v89, v0
	v_fma_f32 v102, v28, s17, -v106
	v_add_f32_e32 v37, v41, v37
	v_mul_f32_e32 v41, 0xbf3f9e67, v39
	v_add_f32_e32 v33, v36, v33
	v_mul_f32_e32 v36, 0xbf3f9e67, v34
	v_add_f32_e32 v3, v17, v3
	v_add_f32_e32 v2, v16, v2
	;; [unrolled: 1-line block ×3, first 2 shown]
	v_fma_f32 v4, v31, s17, -v127
	v_add_f32_e32 v0, v68, v0
	v_fmac_f32_e32 v131, 0x3f62ad3f, v28
	v_add_f32_e32 v75, v114, v75
	v_add_f32_e32 v76, v112, v76
	v_fma_f32 v112, v30, s7, -v119
	v_add_f32_e32 v89, v102, v89
	v_fma_f32 v102, v30, s6, -v107
	v_add_f32_e32 v41, v52, v41
	v_sub_f32_e32 v36, v36, v47
	v_add_f32_e32 v3, v19, v3
	v_add_f32_e32 v2, v18, v2
	;; [unrolled: 1-line block ×3, first 2 shown]
	v_fma_f32 v4, v35, s7, -v128
	v_add_f32_e32 v0, v131, v0
	v_fmac_f32_e32 v130, 0xbf3f9e67, v30
	v_mul_f32_e32 v134, 0x3f7e222b, v67
	v_add_f32_e32 v75, v115, v75
	v_add_f32_e32 v76, v112, v76
	v_fma_f32 v112, v32, s16, -v120
	v_add_f32_e32 v88, v103, v88
	v_add_f32_e32 v89, v102, v89
	v_fma_f32 v102, v32, s15, -v108
	v_add_f32_e32 v37, v41, v37
	v_mul_f32_e32 v41, 0xbf788fa5, v42
	v_add_f32_e32 v33, v36, v33
	v_mul_f32_e32 v36, 0xbf788fa5, v38
	v_add_f32_e32 v3, v21, v3
	v_add_f32_e32 v2, v20, v2
	;; [unrolled: 1-line block ×3, first 2 shown]
	v_fma_f32 v4, v39, s14, -v129
	v_add_f32_e32 v0, v130, v0
	v_fmac_f32_e32 v132, 0x3f116cb1, v32
	v_mov_b32_e32 v74, v134
	v_add_f32_e32 v75, v116, v75
	v_add_f32_e32 v76, v112, v76
	v_fma_f32 v112, v34, s6, -v121
	v_fmac_f32_e32 v123, 0xbf6f5d39, v67
	v_add_f32_e32 v88, v104, v88
	v_add_f32_e32 v89, v102, v89
	v_fma_f32 v102, v34, s16, -v109
	v_fmac_f32_e32 v110, 0x3f52af12, v67
	v_add_f32_e32 v41, v55, v41
	v_sub_f32_e32 v36, v36, v49
	v_add_f32_e32 v3, v23, v3
	v_add_f32_e32 v2, v22, v2
	;; [unrolled: 1-line block ×3, first 2 shown]
	v_fma_f32 v4, v42, s15, -v134
	v_add_f32_e32 v0, v132, v0
	v_fmac_f32_e32 v133, 0xbeb58ec6, v34
	v_fmac_f32_e32 v74, 0x3df6dbef, v42
	v_add_f32_e32 v112, v112, v76
	v_add_f32_e32 v76, v123, v75
	v_fma_f32 v75, v38, s14, -v124
	v_add_f32_e32 v102, v102, v89
	v_add_f32_e32 v89, v110, v88
	v_fma_f32 v88, v38, s7, -v111
	v_add_f32_e32 v37, v41, v37
	v_add_f32_e32 v36, v36, v33
	;; [unrolled: 1-line block ×6, first 2 shown]
	v_fmac_f32_e32 v77, 0x3df6dbef, v38
	v_lshlrev_b32_e32 v4, 3, v87
	v_add_f32_e32 v74, v74, v125
	v_add_f32_e32 v75, v75, v112
	;; [unrolled: 1-line block ×4, first 2 shown]
	ds_write2_b64 v4, v[2:3], v[36:37] offset1:1
	ds_write2_b64 v4, v[56:57], v[53:54] offset0:2 offset1:3
	ds_write2_b64 v4, v[88:89], v[75:76] offset0:4 offset1:5
	;; [unrolled: 1-line block ×5, first 2 shown]
	ds_write_b64 v4, v[44:45] offset:96
.LBB0_7:
	s_or_b64 exec, exec, s[4:5]
	s_load_dwordx4 s[4:7], s[2:3], 0x0
	s_movk_i32 s2, 0x4f
	v_mul_lo_u16_sdwa v0, v86, s2 dst_sel:DWORD dst_unused:UNUSED_PAD src0_sel:BYTE_0 src1_sel:DWORD
	v_lshrrev_b16_e32 v11, 10, v0
	v_mul_lo_u16_e32 v0, 13, v11
	v_sub_u16_e32 v0, v86, v0
	v_and_b32_e32 v46, 0xff, v0
	v_mul_u32_u24_e32 v0, 10, v46
	v_lshlrev_b32_e32 v0, 3, v0
	s_waitcnt lgkmcnt(0)
	s_barrier
	global_load_dwordx4 v[24:27], v0, s[12:13]
	global_load_dwordx4 v[20:23], v0, s[12:13] offset:16
	global_load_dwordx4 v[16:19], v0, s[12:13] offset:32
	;; [unrolled: 1-line block ×4, first 2 shown]
	ds_read2_b64 v[1:4], v85 offset1:104
	ds_read_b64 v[9:10], v85 offset:8320
	v_add_u32_e32 v5, 0x400, v85
	v_add_u32_e32 v0, 0xc00, v85
	;; [unrolled: 1-line block ×4, first 2 shown]
	ds_read2_b64 v[5:8], v5 offset0:80 offset1:184
	ds_read2_b64 v[32:35], v0 offset0:32 offset1:136
	;; [unrolled: 1-line block ×4, first 2 shown]
	s_mov_b32 s2, 0x3f575c64
	s_mov_b32 s3, 0x3ed4b147
	;; [unrolled: 1-line block ×5, first 2 shown]
	v_mul_u32_u24_e32 v11, 0x8f, v11
	v_add_lshl_u32 v88, v11, v46, 3
	v_add_u32_e32 v91, 0x800, v85
	s_waitcnt vmcnt(0) lgkmcnt(0)
	s_barrier
	s_waitcnt lgkmcnt(0)
                                        ; implicit-def: $vgpr74
	v_mul_f32_e32 v47, v4, v25
	v_mul_f32_e32 v48, v3, v25
	;; [unrolled: 1-line block ×6, first 2 shown]
	v_fma_f32 v3, v3, v24, -v47
	v_fmac_f32_e32 v48, v4, v24
	v_mul_f32_e32 v53, v8, v21
	v_mul_f32_e32 v54, v7, v21
	;; [unrolled: 1-line block ×6, first 2 shown]
	v_fma_f32 v5, v5, v26, -v49
	v_fmac_f32_e32 v52, v6, v26
	v_fma_f32 v4, v9, v30, -v67
	v_fmac_f32_e32 v68, v10, v30
	v_add_f32_e32 v9, v1, v3
	v_add_f32_e32 v10, v2, v48
	v_mul_f32_e32 v60, v36, v19
	v_mul_f32_e32 v62, v38, v13
	v_fma_f32 v6, v7, v20, -v53
	v_fmac_f32_e32 v54, v8, v20
	v_fma_f32 v7, v32, v22, -v55
	v_fmac_f32_e32 v56, v33, v22
	v_fma_f32 v32, v36, v18, -v59
	v_fma_f32 v33, v38, v12, -v61
	v_add_f32_e32 v36, v3, v4
	v_sub_f32_e32 v38, v3, v4
	v_add_f32_e32 v3, v9, v5
	v_add_f32_e32 v9, v10, v52
	v_mul_f32_e32 v57, v35, v17
	v_mul_f32_e32 v58, v34, v17
	v_add_f32_e32 v3, v3, v6
	v_add_f32_e32 v9, v9, v54
	v_fma_f32 v8, v34, v16, -v57
	v_fmac_f32_e32 v58, v35, v16
	v_add_f32_e32 v3, v3, v7
	v_add_f32_e32 v9, v9, v56
	v_fmac_f32_e32 v60, v37, v18
	v_add_f32_e32 v3, v3, v8
	v_add_f32_e32 v9, v9, v58
	v_mul_f32_e32 v63, v41, v15
	v_mul_f32_e32 v64, v40, v15
	v_fmac_f32_e32 v62, v39, v12
	v_add_f32_e32 v3, v3, v32
	v_add_f32_e32 v9, v9, v60
	v_mul_f32_e32 v65, v43, v29
	v_mul_f32_e32 v66, v42, v29
	v_fma_f32 v34, v40, v14, -v63
	v_fmac_f32_e32 v64, v41, v14
	v_sub_f32_e32 v39, v48, v68
	v_add_f32_e32 v3, v3, v33
	v_add_f32_e32 v9, v9, v62
	v_fma_f32 v35, v42, v28, -v65
	v_fmac_f32_e32 v66, v43, v28
	v_mul_f32_e32 v10, 0xbf0a6770, v39
	v_add_f32_e32 v3, v3, v34
	v_add_f32_e32 v9, v9, v64
	;; [unrolled: 1-line block ×3, first 2 shown]
	v_mul_f32_e32 v40, 0xbf0a6770, v38
	v_fma_f32 v41, v36, s2, -v10
	v_fmac_f32_e32 v10, 0x3f575c64, v36
	v_add_f32_e32 v3, v3, v35
	v_add_f32_e32 v9, v9, v66
	v_mul_f32_e32 v47, 0xbf68dda4, v38
	v_mul_f32_e32 v55, 0xbf7d64f0, v38
	;; [unrolled: 1-line block ×4, first 2 shown]
	v_mov_b32_e32 v42, v40
	v_add_f32_e32 v3, v3, v4
	v_add_f32_e32 v4, v9, v68
	;; [unrolled: 1-line block ×3, first 2 shown]
	v_fma_f32 v10, v37, s2, -v40
	v_mul_f32_e32 v40, 0xbf68dda4, v39
	v_mov_b32_e32 v48, v47
	v_mul_f32_e32 v49, 0xbf7d64f0, v39
	v_mov_b32_e32 v57, v55
	;; [unrolled: 2-line block ×4, first 2 shown]
	v_fmac_f32_e32 v42, 0x3f575c64, v37
	v_fma_f32 v43, v36, s3, -v40
	v_fmac_f32_e32 v48, 0x3ed4b147, v37
	v_fmac_f32_e32 v40, 0x3ed4b147, v36
	v_fma_f32 v47, v37, s3, -v47
	v_fma_f32 v53, v36, s14, -v49
	v_fmac_f32_e32 v57, 0xbe11bafb, v37
	v_fmac_f32_e32 v49, 0xbe11bafb, v36
	v_fma_f32 v55, v37, s14, -v55
	;; [unrolled: 4-line block ×4, first 2 shown]
	v_add_f32_e32 v42, v2, v42
	v_add_f32_e32 v10, v2, v10
	;; [unrolled: 1-line block ×11, first 2 shown]
	v_sub_f32_e32 v5, v5, v35
	v_sub_f32_e32 v35, v52, v66
	v_mul_f32_e32 v38, 0xbf68dda4, v35
	v_add_f32_e32 v41, v1, v41
	v_add_f32_e32 v43, v1, v43
	;; [unrolled: 1-line block ×9, first 2 shown]
	v_fma_f32 v39, v36, s3, -v38
	v_add_f32_e32 v37, v52, v66
	v_add_f32_e32 v39, v39, v41
	v_mul_f32_e32 v41, 0xbf68dda4, v5
	v_fmac_f32_e32 v38, 0x3ed4b147, v36
	v_add_f32_e32 v9, v38, v9
	v_fma_f32 v38, v37, s3, -v41
	v_add_f32_e32 v10, v38, v10
	v_mul_f32_e32 v38, 0xbf4178ce, v35
	v_mov_b32_e32 v52, v41
	v_fma_f32 v41, v36, s15, -v38
	v_fmac_f32_e32 v52, 0x3ed4b147, v37
	v_add_f32_e32 v41, v41, v43
	v_mul_f32_e32 v43, 0xbf4178ce, v5
	v_add_f32_e32 v42, v52, v42
	v_mov_b32_e32 v52, v43
	v_fmac_f32_e32 v38, 0xbf27a4f4, v36
	v_fmac_f32_e32 v52, 0xbf27a4f4, v37
	v_add_f32_e32 v38, v38, v40
	v_fma_f32 v40, v37, s15, -v43
	v_mul_f32_e32 v43, 0x3e903f40, v35
	v_add_f32_e32 v48, v52, v48
	v_add_f32_e32 v40, v40, v47
	v_fma_f32 v47, v36, s16, -v43
	v_mul_f32_e32 v52, 0x3e903f40, v5
	v_add_f32_e32 v47, v47, v53
	v_mov_b32_e32 v53, v52
	v_fmac_f32_e32 v43, 0xbf75a155, v36
	v_fmac_f32_e32 v53, 0xbf75a155, v37
	v_add_f32_e32 v43, v43, v49
	v_fma_f32 v49, v37, s16, -v52
	v_mul_f32_e32 v52, 0x3f7d64f0, v35
	v_add_f32_e32 v53, v53, v57
	v_add_f32_e32 v49, v49, v55
	v_fma_f32 v55, v36, s14, -v52
	v_mul_f32_e32 v57, 0x3f7d64f0, v5
	v_add_f32_e32 v55, v55, v61
	v_mov_b32_e32 v61, v57
	v_fma_f32 v57, v37, s14, -v57
	v_mul_f32_e32 v5, 0x3f0a6770, v5
	v_add_f32_e32 v57, v57, v63
	v_mov_b32_e32 v63, v5
	v_fma_f32 v5, v37, s2, -v5
	v_fmac_f32_e32 v52, 0xbe11bafb, v36
	v_mul_f32_e32 v35, 0x3f0a6770, v35
	v_add_f32_e32 v2, v5, v2
	v_add_f32_e32 v5, v6, v34
	v_sub_f32_e32 v6, v6, v34
	v_sub_f32_e32 v34, v54, v64
	v_add_f32_e32 v52, v52, v59
	v_fma_f32 v59, v36, s2, -v35
	v_fmac_f32_e32 v35, 0x3f575c64, v36
	v_mul_f32_e32 v36, 0xbf7d64f0, v34
	v_fmac_f32_e32 v61, 0xbe11bafb, v37
	v_fmac_f32_e32 v63, 0x3f575c64, v37
	v_fma_f32 v37, v5, s14, -v36
	v_add_f32_e32 v1, v35, v1
	v_add_f32_e32 v35, v54, v64
	;; [unrolled: 1-line block ×3, first 2 shown]
	v_mul_f32_e32 v39, 0xbf7d64f0, v6
	v_fmac_f32_e32 v36, 0xbe11bafb, v5
	v_add_f32_e32 v9, v36, v9
	v_fma_f32 v36, v35, s14, -v39
	v_add_f32_e32 v10, v36, v10
	v_mul_f32_e32 v36, 0x3e903f40, v34
	v_mov_b32_e32 v54, v39
	v_fma_f32 v39, v5, s16, -v36
	v_add_f32_e32 v39, v39, v41
	v_mul_f32_e32 v41, 0x3e903f40, v6
	v_fmac_f32_e32 v36, 0xbf75a155, v5
	v_add_f32_e32 v36, v36, v38
	v_fma_f32 v38, v35, s16, -v41
	v_fmac_f32_e32 v54, 0xbe11bafb, v35
	v_add_f32_e32 v38, v38, v40
	v_mul_f32_e32 v40, 0x3f68dda4, v34
	v_add_f32_e32 v42, v54, v42
	v_mov_b32_e32 v54, v41
	v_fma_f32 v41, v5, s3, -v40
	v_fmac_f32_e32 v54, 0xbf75a155, v35
	v_add_f32_e32 v41, v41, v47
	v_mul_f32_e32 v47, 0x3f68dda4, v6
	v_add_f32_e32 v48, v54, v48
	v_mov_b32_e32 v54, v47
	v_fmac_f32_e32 v40, 0x3ed4b147, v5
	v_fmac_f32_e32 v54, 0x3ed4b147, v35
	v_add_f32_e32 v40, v40, v43
	v_fma_f32 v43, v35, s3, -v47
	v_mul_f32_e32 v47, 0xbf0a6770, v34
	v_add_f32_e32 v53, v54, v53
	v_add_f32_e32 v43, v43, v49
	v_fma_f32 v49, v5, s2, -v47
	v_mul_f32_e32 v54, 0xbf0a6770, v6
	v_fmac_f32_e32 v47, 0x3f575c64, v5
	v_mul_f32_e32 v34, 0xbf4178ce, v34
	v_mul_f32_e32 v6, 0xbf4178ce, v6
	v_add_f32_e32 v49, v49, v55
	v_mov_b32_e32 v55, v54
	v_add_f32_e32 v47, v47, v52
	v_fma_f32 v52, v35, s2, -v54
	v_fma_f32 v54, v5, s15, -v34
	v_fmac_f32_e32 v34, 0xbf27a4f4, v5
	v_fma_f32 v5, v35, s15, -v6
	v_add_f32_e32 v2, v5, v2
	v_add_f32_e32 v5, v7, v33
	v_sub_f32_e32 v7, v7, v33
	v_sub_f32_e32 v33, v56, v62
	v_add_f32_e32 v52, v52, v57
	v_mov_b32_e32 v57, v6
	v_add_f32_e32 v1, v34, v1
	v_mul_f32_e32 v34, 0xbf4178ce, v33
	v_fmac_f32_e32 v55, 0x3f575c64, v35
	v_fmac_f32_e32 v57, 0xbf27a4f4, v35
	v_fma_f32 v35, v5, s15, -v34
	v_add_f32_e32 v6, v56, v62
	v_add_f32_e32 v35, v35, v37
	v_mul_f32_e32 v37, 0xbf4178ce, v7
	v_fmac_f32_e32 v34, 0xbf27a4f4, v5
	v_add_f32_e32 v9, v34, v9
	v_fma_f32 v34, v6, s15, -v37
	v_add_f32_e32 v10, v34, v10
	v_mul_f32_e32 v34, 0x3f7d64f0, v33
	v_mov_b32_e32 v56, v37
	v_fma_f32 v37, v5, s14, -v34
	v_add_f32_e32 v37, v37, v39
	v_mul_f32_e32 v39, 0x3f7d64f0, v7
	v_fmac_f32_e32 v34, 0xbe11bafb, v5
	v_add_f32_e32 v34, v34, v36
	v_fma_f32 v36, v6, s14, -v39
	v_fmac_f32_e32 v56, 0xbf27a4f4, v6
	v_add_f32_e32 v36, v36, v38
	v_mul_f32_e32 v38, 0xbf0a6770, v33
	v_add_f32_e32 v42, v56, v42
	v_mov_b32_e32 v56, v39
	v_fma_f32 v39, v5, s2, -v38
	v_fmac_f32_e32 v56, 0xbe11bafb, v6
	v_add_f32_e32 v39, v39, v41
	v_mul_f32_e32 v41, 0xbf0a6770, v7
	v_add_f32_e32 v56, v56, v48
	v_mov_b32_e32 v48, v41
	v_fmac_f32_e32 v38, 0x3f575c64, v5
	v_fmac_f32_e32 v48, 0x3f575c64, v6
	v_add_f32_e32 v38, v38, v40
	v_fma_f32 v40, v6, s2, -v41
	v_mul_f32_e32 v41, 0xbe903f40, v33
	v_add_f32_e32 v59, v59, v67
	v_add_f32_e32 v53, v48, v53
	;; [unrolled: 1-line block ×3, first 2 shown]
	v_fma_f32 v43, v5, s16, -v41
	v_mul_f32_e32 v48, 0xbe903f40, v7
	v_fmac_f32_e32 v41, 0xbf75a155, v5
	v_mul_f32_e32 v33, 0x3f68dda4, v33
	v_add_f32_e32 v61, v61, v65
	v_add_f32_e32 v54, v54, v59
	v_add_f32_e32 v43, v43, v49
	v_mov_b32_e32 v49, v48
	v_add_f32_e32 v41, v41, v47
	v_fma_f32 v47, v6, s16, -v48
	v_fma_f32 v48, v5, s3, -v33
	v_mul_f32_e32 v7, 0x3f68dda4, v7
	v_fmac_f32_e32 v33, 0x3ed4b147, v5
	v_add_f32_e32 v65, v58, v60
	v_sub_f32_e32 v58, v58, v60
	v_add_f32_e32 v63, v63, v68
	v_add_f32_e32 v55, v55, v61
	;; [unrolled: 1-line block ×3, first 2 shown]
	v_mov_b32_e32 v48, v7
	v_add_f32_e32 v62, v33, v1
	v_fma_f32 v1, v6, s3, -v7
	v_add_f32_e32 v64, v8, v32
	v_sub_f32_e32 v66, v8, v32
	v_mul_f32_e32 v5, 0xbe903f40, v58
	v_add_f32_e32 v57, v57, v63
	v_fmac_f32_e32 v49, 0xbf75a155, v6
	v_fmac_f32_e32 v48, 0x3ed4b147, v6
	v_add_f32_e32 v63, v1, v2
	v_fma_f32 v1, v64, s16, -v5
	v_mul_f32_e32 v6, 0xbe903f40, v66
	v_fmac_f32_e32 v5, 0xbf75a155, v64
	v_add_f32_e32 v57, v48, v57
	v_add_f32_e32 v48, v5, v9
	v_fma_f32 v5, v65, s16, -v6
	v_mul_f32_e32 v7, 0x3f0a6770, v58
	v_add_f32_e32 v59, v49, v55
	v_add_f32_e32 v49, v5, v10
	v_fma_f32 v5, v64, s2, -v7
	v_mul_f32_e32 v8, 0x3f0a6770, v66
	v_fmac_f32_e32 v7, 0x3f575c64, v64
	v_add_f32_e32 v54, v7, v34
	v_fma_f32 v7, v65, s2, -v8
	v_mul_f32_e32 v9, 0xbf4178ce, v58
	v_mul_f32_e32 v10, 0xbf4178ce, v66
	v_mov_b32_e32 v2, v6
	v_add_f32_e32 v5, v5, v37
	v_mov_b32_e32 v6, v8
	v_add_f32_e32 v55, v7, v36
	v_fma_f32 v7, v64, s15, -v9
	v_mov_b32_e32 v8, v10
	v_fmac_f32_e32 v9, 0xbf27a4f4, v64
	v_mul_f32_e32 v33, 0x3f68dda4, v66
	v_mul_f32_e32 v37, 0xbf7d64f0, v66
	v_add_f32_e32 v47, v47, v52
	v_add_f32_e32 v1, v1, v35
	v_fmac_f32_e32 v2, 0xbf75a155, v65
	v_fmac_f32_e32 v8, 0xbf27a4f4, v65
	v_add_f32_e32 v52, v9, v38
	v_fma_f32 v9, v65, s15, -v10
	v_mul_f32_e32 v32, 0x3f68dda4, v58
	v_mov_b32_e32 v10, v33
	v_mul_f32_e32 v36, 0xbf7d64f0, v58
	v_mov_b32_e32 v35, v37
	v_add_f32_e32 v2, v2, v42
	v_fmac_f32_e32 v6, 0x3f575c64, v65
	v_add_f32_e32 v8, v8, v53
	v_add_f32_e32 v53, v9, v40
	v_fma_f32 v9, v64, s3, -v32
	v_fmac_f32_e32 v10, 0x3ed4b147, v65
	v_fmac_f32_e32 v32, 0x3ed4b147, v64
	v_fma_f32 v33, v65, s3, -v33
	v_fma_f32 v34, v64, s14, -v36
	v_fmac_f32_e32 v35, 0xbe11bafb, v65
	v_fmac_f32_e32 v36, 0xbe11bafb, v64
	v_fma_f32 v37, v65, s14, -v37
	v_add_f32_e32 v6, v6, v56
	v_add_f32_e32 v7, v7, v39
	;; [unrolled: 1-line block ×10, first 2 shown]
	ds_write2_b64 v88, v[3:4], v[1:2] offset1:13
	ds_write2_b64 v88, v[5:6], v[7:8] offset0:26 offset1:39
	ds_write2_b64 v88, v[9:10], v[34:35] offset0:52 offset1:65
	;; [unrolled: 1-line block ×4, first 2 shown]
	ds_write_b64 v88, v[48:49] offset:1040
	s_waitcnt lgkmcnt(0)
	s_barrier
	ds_read2_b64 v[56:59], v85 offset1:143
	ds_read2_b64 v[68:71], v91 offset0:30 offset1:173
	ds_read2_b64 v[64:67], v90 offset0:60 offset1:203
	;; [unrolled: 1-line block ×3, first 2 shown]
	v_cmp_gt_u16_e64 s[2:3], 39, v86
	s_and_saveexec_b64 s[14:15], s[2:3]
	s_cbranch_execz .LBB0_9
; %bb.8:
	ds_read2_b64 v[52:55], v85 offset0:104 offset1:247
	ds_read2_b64 v[48:51], v0 offset0:6 offset1:149
	v_add_u32_e32 v0, 0x1400, v85
	ds_read2_b64 v[44:47], v0 offset0:36 offset1:179
	v_add_u32_e32 v0, 0x1c00, v85
	ds_read2_b64 v[72:75], v0 offset0:66 offset1:209
.LBB0_9:
	s_or_b64 exec, exec, s[14:15]
	v_mad_u64_u32 v[0:1], s[14:15], v86, 56, s[12:13]
	v_add_u32_e32 v2, 0x68, v86
	v_subrev_u32_e32 v3, 39, v86
	v_cndmask_b32_e64 v2, v3, v2, s[2:3]
	global_load_dwordx4 v[36:39], v[0:1], off offset:1040
	global_load_dwordx4 v[32:35], v[0:1], off offset:1056
	global_load_dwordx2 v[83:84], v[0:1], off offset:1088
	global_load_dwordx4 v[40:43], v[0:1], off offset:1072
	v_mul_i32_i24_e32 v0, 56, v2
	v_mov_b32_e32 v4, s13
	v_mul_hi_i32_i24_e32 v3, 56, v2
	v_add_co_u32_e32 v76, vcc, s12, v0
	v_addc_co_u32_e32 v77, vcc, v4, v3, vcc
	global_load_dwordx4 v[8:11], v[76:77], off offset:1040
	global_load_dwordx4 v[0:3], v[76:77], off offset:1056
	;; [unrolled: 1-line block ×3, first 2 shown]
	global_load_dwordx2 v[81:82], v[76:77], off offset:1088
	s_waitcnt vmcnt(7) lgkmcnt(3)
	v_mul_f32_e32 v76, v59, v37
	v_mul_f32_e32 v77, v58, v37
	s_waitcnt lgkmcnt(2)
	v_mul_f32_e32 v78, v69, v39
	v_mul_f32_e32 v79, v68, v39
	s_waitcnt vmcnt(6)
	v_mul_f32_e32 v92, v71, v33
	v_mul_f32_e32 v93, v70, v33
	s_waitcnt lgkmcnt(1)
	v_mul_f32_e32 v94, v65, v35
	v_mul_f32_e32 v95, v64, v35
	s_waitcnt vmcnt(4)
	v_mul_f32_e32 v96, v67, v41
	v_mul_f32_e32 v97, v66, v41
	s_waitcnt lgkmcnt(0)
	v_mul_f32_e32 v98, v61, v43
	v_mul_f32_e32 v99, v60, v43
	;; [unrolled: 1-line block ×4, first 2 shown]
	s_waitcnt vmcnt(3)
	v_mul_f32_e32 v103, v54, v9
	v_mul_f32_e32 v105, v48, v11
	s_waitcnt vmcnt(2)
	v_mul_f32_e32 v106, v51, v1
	v_mul_f32_e32 v107, v50, v1
	v_fma_f32 v58, v58, v36, -v76
	v_fmac_f32_e32 v77, v59, v36
	v_fma_f32 v59, v68, v38, -v78
	v_fmac_f32_e32 v79, v69, v38
	;; [unrolled: 2-line block ×7, first 2 shown]
	v_mul_f32_e32 v102, v55, v9
	v_mul_f32_e32 v104, v49, v11
	;; [unrolled: 1-line block ×3, first 2 shown]
	s_waitcnt vmcnt(1)
	v_mul_f32_e32 v110, v47, v5
	v_mul_f32_e32 v112, v73, v7
	v_fmac_f32_e32 v103, v55, v8
	v_fmac_f32_e32 v105, v49, v10
	v_fma_f32 v49, v50, v0, -v106
	v_fmac_f32_e32 v107, v51, v0
	v_sub_f32_e32 v50, v56, v64
	v_sub_f32_e32 v51, v57, v95
	;; [unrolled: 1-line block ×8, first 2 shown]
	v_mul_f32_e32 v108, v45, v3
	v_mul_f32_e32 v111, v46, v5
	v_mul_f32_e32 v113, v72, v7
	v_fmac_f32_e32 v109, v45, v2
	v_fma_f32 v45, v46, v4, -v110
	v_fma_f32 v46, v72, v6, -v112
	v_fma_f32 v57, v57, 2.0, -v51
	v_fma_f32 v64, v79, 2.0, -v60
	;; [unrolled: 1-line block ×6, first 2 shown]
	v_sub_f32_e32 v72, v50, v60
	v_fma_f32 v56, v56, 2.0, -v50
	v_fma_f32 v59, v59, 2.0, -v55
	v_sub_f32_e32 v71, v57, v64
	v_add_f32_e32 v55, v51, v55
	v_fma_f32 v50, v50, 2.0, -v72
	v_sub_f32_e32 v64, v58, v67
	v_sub_f32_e32 v67, v65, v68
	;; [unrolled: 1-line block ×3, first 2 shown]
	v_fmac_f32_e32 v113, v73, v6
	v_sub_f32_e32 v70, v56, v59
	v_fma_f32 v51, v51, 2.0, -v55
	v_fma_f32 v59, v65, 2.0, -v67
	v_add_f32_e32 v73, v63, v61
	v_fma_f32 v65, v62, 2.0, -v66
	v_mov_b32_e32 v62, v50
	v_fma_f32 v68, v63, 2.0, -v73
	v_fmac_f32_e32 v62, 0xbf3504f3, v65
	v_mov_b32_e32 v63, v51
	v_fmac_f32_e32 v63, 0xbf3504f3, v68
	v_fmac_f32_e32 v62, 0xbf3504f3, v68
	v_sub_f32_e32 v68, v70, v67
	s_waitcnt vmcnt(0)
	v_mul_f32_e32 v114, v75, v82
	v_fma_f32 v56, v56, 2.0, -v70
	v_fma_f32 v58, v58, 2.0, -v64
	v_add_f32_e32 v69, v71, v64
	v_fma_f32 v64, v70, 2.0, -v68
	v_mov_b32_e32 v70, v72
	v_mul_f32_e32 v115, v74, v82
	v_fma_f32 v54, v54, v8, -v102
	v_fma_f32 v48, v48, v10, -v104
	;; [unrolled: 1-line block ×3, first 2 shown]
	v_fmac_f32_e32 v111, v47, v4
	v_fma_f32 v47, v74, v81, -v114
	v_fma_f32 v57, v57, 2.0, -v71
	v_fmac_f32_e32 v63, 0x3f3504f3, v65
	v_fma_f32 v65, v71, 2.0, -v69
	v_fmac_f32_e32 v70, 0x3f3504f3, v66
	v_mov_b32_e32 v71, v55
	v_fmac_f32_e32 v115, v75, v81
	v_sub_f32_e32 v60, v56, v58
	v_fma_f32 v58, v50, 2.0, -v62
	v_fmac_f32_e32 v71, 0x3f3504f3, v73
	v_fmac_f32_e32 v70, 0xbf3504f3, v73
	v_sub_f32_e32 v44, v52, v44
	v_sub_f32_e32 v50, v53, v109
	;; [unrolled: 1-line block ×6, first 2 shown]
	v_fma_f32 v59, v51, 2.0, -v63
	v_fmac_f32_e32 v71, 0x3f3504f3, v66
	v_fma_f32 v66, v72, 2.0, -v70
	v_fma_f32 v51, v52, 2.0, -v44
	;; [unrolled: 1-line block ×3, first 2 shown]
	v_sub_f32_e32 v53, v105, v113
	v_sub_f32_e32 v72, v103, v111
	v_fma_f32 v54, v54, 2.0, -v45
	v_sub_f32_e32 v74, v107, v115
	v_fma_f32 v49, v49, 2.0, -v47
	v_add_f32_e32 v79, v50, v46
	v_fma_f32 v67, v55, 2.0, -v71
	v_fma_f32 v48, v48, 2.0, -v46
	;; [unrolled: 1-line block ×6, first 2 shown]
	v_sub_f32_e32 v49, v54, v49
	v_add_f32_e32 v92, v72, v47
	v_sub_f32_e32 v76, v51, v48
	v_sub_f32_e32 v55, v52, v55
	;; [unrolled: 1-line block ×3, first 2 shown]
	v_fma_f32 v46, v54, 2.0, -v49
	v_sub_f32_e32 v54, v45, v74
	v_fma_f32 v74, v72, 2.0, -v92
	v_mov_b32_e32 v47, v50
	v_fma_f32 v48, v51, 2.0, -v76
	v_fma_f32 v51, v52, 2.0, -v55
	v_sub_f32_e32 v78, v44, v53
	v_fma_f32 v53, v73, 2.0, -v77
	v_fma_f32 v45, v45, 2.0, -v54
	v_fmac_f32_e32 v47, 0xbf3504f3, v74
	v_fma_f32 v44, v44, 2.0, -v78
	v_sub_f32_e32 v53, v51, v53
	v_fmac_f32_e32 v47, 0x3f3504f3, v45
	v_sub_f32_e32 v52, v48, v46
	v_fma_f32 v73, v51, 2.0, -v53
	v_mov_b32_e32 v46, v44
	v_fma_f32 v75, v50, 2.0, -v47
	v_mov_b32_e32 v50, v78
	v_mov_b32_e32 v51, v79
	v_fmac_f32_e32 v46, 0xbf3504f3, v45
	v_fmac_f32_e32 v50, 0x3f3504f3, v54
	;; [unrolled: 1-line block ×3, first 2 shown]
	v_fma_f32 v72, v48, 2.0, -v52
	v_fmac_f32_e32 v46, 0xbf3504f3, v74
	v_sub_f32_e32 v48, v76, v77
	v_add_f32_e32 v49, v55, v49
	v_fmac_f32_e32 v50, 0xbf3504f3, v92
	v_fmac_f32_e32 v51, 0x3f3504f3, v54
	v_fma_f32 v56, v56, 2.0, -v60
	v_fma_f32 v57, v57, 2.0, -v61
	;; [unrolled: 1-line block ×7, first 2 shown]
	ds_write2_b64 v85, v[56:57], v[58:59] offset1:143
	ds_write2_b64 v91, v[64:65], v[66:67] offset0:30 offset1:173
	ds_write2_b64 v90, v[60:61], v[62:63] offset0:60 offset1:203
	ds_write2_b64 v89, v[68:69], v[70:71] offset0:90 offset1:233
	s_and_saveexec_b64 s[12:13], s[2:3]
	s_cbranch_execz .LBB0_11
; %bb.10:
	v_add_u32_e32 v44, 0xc00, v85
	ds_write2_b64 v44, v[76:77], v[78:79] offset0:6 offset1:149
	v_add_u32_e32 v44, 0x1400, v85
	ds_write2_b64 v44, v[52:53], v[46:47] offset0:36 offset1:179
	;; [unrolled: 2-line block ×3, first 2 shown]
	ds_write2_b64 v44, v[48:49], v[50:51] offset0:66 offset1:209
.LBB0_11:
	s_or_b64 exec, exec, s[12:13]
	s_waitcnt lgkmcnt(0)
	s_barrier
	s_and_saveexec_b64 s[12:13], s[0:1]
	s_cbranch_execz .LBB0_13
; %bb.12:
	v_mov_b32_e32 v44, s11
	v_add_co_u32_e32 v91, vcc, s10, v85
	v_addc_co_u32_e32 v92, vcc, 0, v44, vcc
	v_add_co_u32_e32 v44, vcc, 0x23c0, v91
	v_addc_co_u32_e32 v45, vcc, 0, v92, vcc
	v_add_co_u32_e32 v54, vcc, 0x2000, v91
	v_addc_co_u32_e32 v55, vcc, 0, v92, vcc
	global_load_dwordx2 v[89:90], v[54:55], off offset:960
	global_load_dwordx2 v[109:110], v[44:45], off offset:704
	;; [unrolled: 1-line block ×5, first 2 shown]
	s_movk_i32 s14, 0x3000
	v_add_co_u32_e32 v54, vcc, s14, v91
	v_addc_co_u32_e32 v55, vcc, 0, v92, vcc
	global_load_dwordx2 v[117:118], v[54:55], off offset:1088
	global_load_dwordx2 v[119:120], v[54:55], off offset:1792
	;; [unrolled: 1-line block ×6, first 2 shown]
	s_movk_i32 s14, 0x4000
	v_add_co_u32_e32 v44, vcc, s14, v91
	v_addc_co_u32_e32 v45, vcc, 0, v92, vcc
	global_load_dwordx2 v[54:55], v[44:45], off offset:512
	global_load_dwordx2 v[129:130], v[44:45], off offset:1216
	ds_read_b64 v[44:45], v85
	v_add_u32_e32 v131, 0x800, v85
	v_add_u32_e32 v132, 0xc00, v85
	v_add_u32_e32 v133, 0x1000, v85
	v_add_u32_e32 v134, 0x1800, v85
	s_waitcnt vmcnt(12) lgkmcnt(0)
	v_mul_f32_e32 v92, v45, v90
	v_mul_f32_e32 v91, v44, v90
	v_fma_f32 v90, v44, v89, -v92
	v_fmac_f32_e32 v91, v45, v89
	ds_write_b64 v85, v[90:91]
	ds_read2_b64 v[89:92], v85 offset0:88 offset1:176
	ds_read2_b64 v[93:96], v131 offset0:8 offset1:96
	;; [unrolled: 1-line block ×5, first 2 shown]
	s_waitcnt vmcnt(11) lgkmcnt(4)
	v_mul_f32_e32 v44, v90, v110
	v_mul_f32_e32 v45, v89, v110
	s_waitcnt vmcnt(10)
	v_mul_f32_e32 v135, v92, v112
	v_mul_f32_e32 v110, v91, v112
	s_waitcnt vmcnt(9) lgkmcnt(3)
	v_mul_f32_e32 v136, v94, v114
	v_mul_f32_e32 v112, v93, v114
	s_waitcnt vmcnt(8)
	v_mul_f32_e32 v137, v96, v116
	v_mul_f32_e32 v114, v95, v116
	s_waitcnt vmcnt(5) lgkmcnt(2)
	v_mul_f32_e32 v138, v98, v122
	v_mul_f32_e32 v116, v97, v122
	;; [unrolled: 1-line block ×4, first 2 shown]
	s_waitcnt lgkmcnt(1)
	v_mul_f32_e32 v140, v102, v120
	v_mul_f32_e32 v118, v101, v120
	s_waitcnt vmcnt(4)
	v_mul_f32_e32 v141, v104, v124
	v_mul_f32_e32 v120, v103, v124
	v_fma_f32 v44, v89, v109, -v44
	v_fmac_f32_e32 v45, v90, v109
	v_fma_f32 v109, v91, v111, -v135
	v_fmac_f32_e32 v110, v92, v111
	;; [unrolled: 2-line block ×8, first 2 shown]
	ds_write2_b64 v85, v[44:45], v[109:110] offset0:88 offset1:176
	ds_write2_b64 v131, v[111:112], v[113:114] offset0:8 offset1:96
	;; [unrolled: 1-line block ×4, first 2 shown]
	v_add_u32_e32 v93, 0x1c00, v85
	ds_read2_b64 v[89:92], v93 offset0:72 offset1:160
	s_waitcnt vmcnt(3) lgkmcnt(5)
	v_mul_f32_e32 v142, v106, v126
	v_mul_f32_e32 v124, v105, v126
	s_waitcnt vmcnt(2)
	v_mul_f32_e32 v126, v108, v128
	v_mul_f32_e32 v45, v107, v128
	v_fma_f32 v123, v105, v125, -v142
	v_fmac_f32_e32 v124, v106, v125
	v_fma_f32 v44, v107, v127, -v126
	v_fmac_f32_e32 v45, v108, v127
	ds_write2_b64 v134, v[123:124], v[44:45] offset0:24 offset1:112
	s_waitcnt vmcnt(1) lgkmcnt(1)
	v_mul_f32_e32 v44, v90, v55
	v_mul_f32_e32 v45, v89, v55
	v_fma_f32 v44, v89, v54, -v44
	v_fmac_f32_e32 v45, v90, v54
	s_waitcnt vmcnt(0)
	v_mul_f32_e32 v54, v92, v130
	v_mul_f32_e32 v55, v91, v130
	v_fma_f32 v54, v91, v129, -v54
	v_fmac_f32_e32 v55, v92, v129
	ds_write2_b64 v93, v[44:45], v[54:55] offset0:72 offset1:160
.LBB0_13:
	s_or_b64 exec, exec, s[12:13]
	s_waitcnt lgkmcnt(0)
	s_barrier
	s_and_saveexec_b64 s[12:13], s[0:1]
	s_cbranch_execz .LBB0_15
; %bb.14:
	v_add_u32_e32 v44, 0x400, v85
	ds_read2_b64 v[64:67], v44 offset0:48 offset1:136
	v_add_u32_e32 v44, 0x800, v85
	ds_read2_b64 v[60:63], v44 offset0:96 offset1:184
	;; [unrolled: 2-line block ×4, first 2 shown]
	v_add_u32_e32 v44, 0x1800, v85
	ds_read2_b64 v[56:59], v85 offset1:88
	ds_read2_b64 v[76:79], v44 offset0:112 offset1:200
	ds_read_b64 v[52:53], v85 offset:8448
.LBB0_15:
	s_or_b64 exec, exec, s[12:13]
	s_waitcnt lgkmcnt(0)
	v_sub_f32_e32 v130, v59, v53
	v_add_f32_e32 v89, v52, v58
	v_add_f32_e32 v111, v53, v59
	s_mov_b32 s14, 0x3f62ad3f
	v_mul_f32_e32 v96, 0xbeedf032, v130
	v_sub_f32_e32 v132, v65, v79
	v_mul_f32_e32 v99, 0x3f62ad3f, v111
	v_fma_f32 v44, v89, s14, -v96
	s_mov_b32 s15, 0x3f116cb1
	v_add_f32_e32 v90, v78, v64
	v_add_f32_e32 v116, v79, v65
	v_mul_f32_e32 v100, 0xbf52af12, v132
	v_sub_f32_e32 v91, v58, v52
	v_add_f32_e32 v44, v56, v44
	v_mov_b32_e32 v45, v99
	v_mul_f32_e32 v103, 0x3f116cb1, v116
	v_fma_f32 v92, v90, s15, -v100
	v_fmac_f32_e32 v45, 0xbeedf032, v91
	v_mul_f32_e32 v104, 0xbf52af12, v130
	v_sub_f32_e32 v93, v64, v78
	v_add_f32_e32 v44, v92, v44
	v_mov_b32_e32 v92, v103
	v_add_f32_e32 v45, v57, v45
	v_mul_f32_e32 v107, 0x3f116cb1, v111
	v_fma_f32 v54, v89, s15, -v104
	v_fmac_f32_e32 v92, 0xbf52af12, v93
	s_mov_b32 s16, 0xbeb58ec6
	v_mul_f32_e32 v109, 0xbf6f5d39, v132
	v_add_f32_e32 v54, v56, v54
	v_mov_b32_e32 v55, v107
	v_add_f32_e32 v45, v92, v45
	v_mul_f32_e32 v112, 0xbeb58ec6, v116
	v_fma_f32 v92, v90, s16, -v109
	v_fmac_f32_e32 v55, 0xbf52af12, v91
	v_add_f32_e32 v54, v92, v54
	v_mov_b32_e32 v92, v112
	v_add_f32_e32 v55, v57, v55
	v_fmac_f32_e32 v92, 0xbf6f5d39, v93
	v_sub_f32_e32 v133, v67, v77
	v_add_f32_e32 v55, v92, v55
	v_add_f32_e32 v92, v76, v66
	;; [unrolled: 1-line block ×3, first 2 shown]
	s_mov_b32 s17, 0x3df6dbef
	v_mul_f32_e32 v105, 0xbf7e222b, v133
	v_mul_f32_e32 v108, 0x3df6dbef, v121
	v_fma_f32 v95, v92, s17, -v105
	v_sub_f32_e32 v94, v66, v76
	v_add_f32_e32 v44, v95, v44
	v_mov_b32_e32 v95, v108
	v_fmac_f32_e32 v95, 0xbf7e222b, v94
	s_mov_b32 s18, 0xbf788fa5
	v_mul_f32_e32 v114, 0xbe750f2a, v133
	v_add_f32_e32 v45, v95, v45
	v_mul_f32_e32 v117, 0xbf788fa5, v121
	v_fma_f32 v95, v92, s18, -v114
	v_add_f32_e32 v54, v95, v54
	v_mov_b32_e32 v95, v117
	v_fmac_f32_e32 v95, 0xbe750f2a, v94
	v_sub_f32_e32 v134, v61, v75
	v_add_f32_e32 v55, v95, v55
	v_add_f32_e32 v95, v74, v60
	;; [unrolled: 1-line block ×3, first 2 shown]
	v_mul_f32_e32 v110, 0xbf6f5d39, v134
	v_mul_f32_e32 v113, 0xbeb58ec6, v126
	v_fma_f32 v98, v95, s16, -v110
	v_sub_f32_e32 v97, v60, v74
	v_add_f32_e32 v44, v98, v44
	v_mov_b32_e32 v98, v113
	v_fmac_f32_e32 v98, 0xbf6f5d39, v97
	s_mov_b32 s19, 0xbf3f9e67
	v_mul_f32_e32 v119, 0x3f29c268, v134
	v_add_f32_e32 v45, v98, v45
	v_mul_f32_e32 v122, 0xbf3f9e67, v126
	v_fma_f32 v98, v95, s19, -v119
	v_add_f32_e32 v54, v98, v54
	v_mov_b32_e32 v98, v122
	v_fmac_f32_e32 v98, 0x3f29c268, v97
	v_sub_f32_e32 v135, v63, v73
	v_add_f32_e32 v55, v98, v55
	v_add_f32_e32 v98, v72, v62
	v_add_f32_e32 v129, v73, v63
	v_mul_f32_e32 v115, 0xbf29c268, v135
	v_mul_f32_e32 v118, 0xbf3f9e67, v129
	v_fma_f32 v102, v98, s19, -v115
	v_sub_f32_e32 v101, v62, v72
	v_add_f32_e32 v44, v102, v44
	v_mov_b32_e32 v102, v118
	v_fmac_f32_e32 v102, 0xbf29c268, v101
	v_mul_f32_e32 v124, 0x3f7e222b, v135
	v_add_f32_e32 v45, v102, v45
	v_mul_f32_e32 v125, 0x3df6dbef, v129
	v_fma_f32 v102, v98, s17, -v124
	v_add_f32_e32 v54, v102, v54
	v_mov_b32_e32 v102, v125
	v_fmac_f32_e32 v102, 0x3f7e222b, v101
	v_sub_f32_e32 v136, v69, v71
	v_add_f32_e32 v55, v102, v55
	v_add_f32_e32 v102, v70, v68
	;; [unrolled: 1-line block ×3, first 2 shown]
	v_mul_f32_e32 v120, 0xbe750f2a, v136
	v_mul_f32_e32 v123, 0xbf788fa5, v131
	v_fma_f32 v127, v102, s18, -v120
	v_sub_f32_e32 v106, v68, v70
	v_add_f32_e32 v44, v127, v44
	v_mov_b32_e32 v127, v123
	v_fmac_f32_e32 v127, 0xbe750f2a, v106
	v_add_f32_e32 v45, v127, v45
	v_mul_f32_e32 v127, 0x3eedf032, v136
	v_mul_f32_e32 v128, 0x3f62ad3f, v131
	v_fma_f32 v137, v102, s14, -v127
	v_add_f32_e32 v54, v137, v54
	v_mov_b32_e32 v137, v128
	v_fmac_f32_e32 v137, 0x3eedf032, v106
	v_add_f32_e32 v55, v137, v55
	s_barrier
	s_and_saveexec_b64 s[12:13], s[0:1]
	s_cbranch_execz .LBB0_17
; %bb.16:
	v_mul_f32_e32 v169, 0xbf7e222b, v91
	v_mov_b32_e32 v137, v169
	v_mul_f32_e32 v170, 0xbe750f2a, v93
	v_fmac_f32_e32 v137, 0x3df6dbef, v111
	v_mov_b32_e32 v138, v170
	v_add_f32_e32 v137, v57, v137
	v_fmac_f32_e32 v138, 0xbf788fa5, v116
	v_mul_f32_e32 v171, 0x3f6f5d39, v94
	v_add_f32_e32 v137, v138, v137
	v_mov_b32_e32 v138, v171
	v_fmac_f32_e32 v138, 0xbeb58ec6, v121
	v_mul_f32_e32 v172, 0x3eedf032, v97
	v_add_f32_e32 v137, v138, v137
	v_mov_b32_e32 v138, v172
	;; [unrolled: 4-line block ×4, first 2 shown]
	v_fmac_f32_e32 v138, 0xbf3f9e67, v131
	v_mul_f32_e32 v175, 0xbf7e222b, v130
	v_add_f32_e32 v138, v138, v137
	v_fma_f32 v137, v89, s17, -v175
	v_mul_f32_e32 v176, 0xbe750f2a, v132
	v_add_f32_e32 v137, v56, v137
	v_fma_f32 v139, v90, s18, -v176
	;; [unrolled: 3-line block ×6, first 2 shown]
	v_mul_f32_e32 v181, 0xbf6f5d39, v91
	v_add_f32_e32 v137, v139, v137
	v_mov_b32_e32 v139, v181
	v_mul_f32_e32 v182, 0x3f29c268, v93
	v_fmac_f32_e32 v139, 0xbeb58ec6, v111
	v_mov_b32_e32 v140, v182
	v_add_f32_e32 v139, v57, v139
	v_fmac_f32_e32 v140, 0xbf3f9e67, v116
	v_mul_f32_e32 v183, 0x3eedf032, v94
	v_add_f32_e32 v139, v140, v139
	v_mov_b32_e32 v140, v183
	v_fmac_f32_e32 v140, 0x3f62ad3f, v121
	v_mul_f32_e32 v184, 0xbf7e222b, v97
	v_add_f32_e32 v139, v140, v139
	v_mov_b32_e32 v140, v184
	;; [unrolled: 4-line block ×4, first 2 shown]
	v_fmac_f32_e32 v140, 0x3f116cb1, v131
	v_mul_f32_e32 v187, 0xbf6f5d39, v130
	v_add_f32_e32 v140, v140, v139
	v_fma_f32 v139, v89, s16, -v187
	v_mul_f32_e32 v188, 0x3f29c268, v132
	v_add_f32_e32 v139, v56, v139
	v_fma_f32 v141, v90, s19, -v188
	;; [unrolled: 3-line block ×6, first 2 shown]
	v_mul_f32_e32 v193, 0xbf29c268, v91
	v_add_f32_e32 v139, v141, v139
	v_mov_b32_e32 v141, v193
	v_mul_f32_e32 v194, 0x3f7e222b, v93
	v_fmac_f32_e32 v141, 0xbf3f9e67, v111
	v_mov_b32_e32 v142, v194
	v_add_f32_e32 v141, v57, v141
	v_fmac_f32_e32 v142, 0x3df6dbef, v116
	v_mul_f32_e32 v195, 0xbf52af12, v94
	v_add_f32_e32 v141, v142, v141
	v_mov_b32_e32 v142, v195
	v_fmac_f32_e32 v142, 0x3f116cb1, v121
	v_mul_f32_e32 v196, 0x3e750f2a, v97
	v_add_f32_e32 v141, v142, v141
	v_mov_b32_e32 v142, v196
	;; [unrolled: 4-line block ×4, first 2 shown]
	v_fmac_f32_e32 v142, 0xbeb58ec6, v131
	v_mul_f32_e32 v199, 0xbf29c268, v130
	v_add_f32_e32 v142, v142, v141
	v_fma_f32 v141, v89, s19, -v199
	v_mul_f32_e32 v200, 0x3f7e222b, v132
	v_add_f32_e32 v141, v56, v141
	v_fma_f32 v143, v90, s17, -v200
	;; [unrolled: 3-line block ×6, first 2 shown]
	v_mul_f32_e32 v205, 0xbf788fa5, v111
	v_mul_f32_e32 v211, 0xbe750f2a, v130
	v_add_f32_e32 v141, v143, v141
	v_mov_b32_e32 v143, v205
	v_mul_f32_e32 v206, 0x3f62ad3f, v116
	v_mov_b32_e32 v130, v211
	v_mul_f32_e32 v212, 0x3eedf032, v132
	v_fmac_f32_e32 v143, 0x3e750f2a, v91
	v_mov_b32_e32 v144, v206
	v_fmac_f32_e32 v130, 0xbf788fa5, v89
	v_mov_b32_e32 v132, v212
	v_add_f32_e32 v143, v57, v143
	v_fmac_f32_e32 v144, 0xbeedf032, v93
	v_mul_f32_e32 v207, 0xbf3f9e67, v121
	v_add_f32_e32 v130, v56, v130
	v_fmac_f32_e32 v132, 0x3f62ad3f, v90
	v_mul_f32_e32 v213, 0xbf29c268, v133
	v_add_f32_e32 v143, v144, v143
	v_mov_b32_e32 v144, v207
	v_add_f32_e32 v130, v132, v130
	v_mov_b32_e32 v132, v213
	v_fmac_f32_e32 v144, 0x3f29c268, v94
	v_mul_f32_e32 v208, 0x3f116cb1, v126
	v_fmac_f32_e32 v132, 0xbf3f9e67, v92
	v_mul_f32_e32 v214, 0x3f52af12, v134
	v_add_f32_e32 v143, v144, v143
	v_mov_b32_e32 v144, v208
	v_add_f32_e32 v130, v132, v130
	v_mov_b32_e32 v132, v214
	v_fmac_f32_e32 v144, 0xbf52af12, v97
	v_mul_f32_e32 v209, 0xbeb58ec6, v129
	;; [unrolled: 8-line block ×3, first 2 shown]
	v_fmac_f32_e32 v132, 0xbeb58ec6, v98
	v_mul_f32_e32 v136, 0x3f7e222b, v136
	v_add_f32_e32 v143, v144, v143
	v_mov_b32_e32 v144, v210
	v_add_f32_e32 v130, v132, v130
	v_mov_b32_e32 v132, v136
	v_fmac_f32_e32 v144, 0xbf7e222b, v106
	v_fmac_f32_e32 v132, 0x3df6dbef, v102
	v_add_f32_e32 v144, v144, v143
	v_add_f32_e32 v143, v132, v130
	v_fma_f32 v130, v111, s19, -v193
	v_add_f32_e32 v130, v57, v130
	v_fma_f32 v132, v116, s17, -v194
	;; [unrolled: 2-line block ×6, first 2 shown]
	v_fmac_f32_e32 v199, 0xbf3f9e67, v89
	v_add_f32_e32 v133, v132, v130
	v_add_f32_e32 v130, v56, v199
	v_fmac_f32_e32 v200, 0x3df6dbef, v90
	v_add_f32_e32 v130, v200, v130
	v_fmac_f32_e32 v201, 0x3f116cb1, v92
	;; [unrolled: 2-line block ×5, first 2 shown]
	v_add_f32_e32 v132, v204, v130
	v_fma_f32 v130, v111, s16, -v181
	v_add_f32_e32 v130, v57, v130
	v_fma_f32 v134, v116, s19, -v182
	v_add_f32_e32 v130, v134, v130
	v_fma_f32 v134, v121, s14, -v183
	v_add_f32_e32 v130, v134, v130
	v_fma_f32 v134, v126, s17, -v184
	v_add_f32_e32 v130, v134, v130
	v_fma_f32 v134, v129, s18, -v185
	v_add_f32_e32 v130, v134, v130
	v_fma_f32 v134, v131, s15, -v186
	v_fmac_f32_e32 v187, 0xbeb58ec6, v89
	v_fma_f32 v111, v111, s17, -v169
	v_add_f32_e32 v135, v134, v130
	v_add_f32_e32 v130, v56, v187
	v_fmac_f32_e32 v188, 0xbf3f9e67, v90
	v_add_f32_e32 v111, v57, v111
	v_fma_f32 v116, v116, s18, -v170
	v_add_f32_e32 v130, v188, v130
	v_fmac_f32_e32 v189, 0x3f62ad3f, v92
	v_add_f32_e32 v111, v116, v111
	v_fma_f32 v116, v121, s16, -v171
	;; [unrolled: 4-line block ×5, first 2 shown]
	v_fmac_f32_e32 v175, 0x3df6dbef, v89
	v_add_f32_e32 v134, v192, v130
	v_add_f32_e32 v130, v116, v111
	;; [unrolled: 1-line block ×3, first 2 shown]
	v_fmac_f32_e32 v176, 0xbf788fa5, v90
	v_add_f32_e32 v111, v176, v111
	v_fmac_f32_e32 v177, 0xbeb58ec6, v92
	v_add_f32_e32 v111, v177, v111
	v_fmac_f32_e32 v178, 0x3f62ad3f, v95
	v_mul_f32_e32 v148, 0xbf52af12, v91
	v_add_f32_e32 v111, v178, v111
	v_fmac_f32_e32 v179, 0x3f116cb1, v98
	v_add_f32_e32 v58, v58, v56
	v_mul_f32_e32 v152, 0xbf6f5d39, v93
	v_add_f32_e32 v111, v179, v111
	v_fmac_f32_e32 v180, 0xbf3f9e67, v102
	v_sub_f32_e32 v107, v107, v148
	v_add_f32_e32 v58, v64, v58
	v_mul_f32_e32 v156, 0xbe750f2a, v94
	v_add_f32_e32 v129, v180, v111
	v_add_f32_e32 v107, v57, v107
	v_sub_f32_e32 v111, v112, v152
	v_add_f32_e32 v58, v66, v58
	v_mul_f32_e32 v160, 0x3f29c268, v97
	v_add_f32_e32 v107, v111, v107
	v_sub_f32_e32 v111, v117, v156
	v_add_f32_e32 v58, v60, v58
	v_mul_f32_e32 v164, 0x3f7e222b, v101
	;; [unrolled: 4-line block ×3, first 2 shown]
	v_mul_f32_e32 v147, 0x3f116cb1, v89
	v_mul_f32_e32 v168, 0x3eedf032, v106
	v_add_f32_e32 v107, v111, v107
	v_sub_f32_e32 v111, v125, v164
	v_add_f32_e32 v58, v68, v58
	v_mul_f32_e32 v150, 0xbf52af12, v93
	v_mul_f32_e32 v151, 0xbeb58ec6, v90
	v_add_f32_e32 v107, v111, v107
	v_sub_f32_e32 v111, v128, v168
	v_add_f32_e32 v104, v147, v104
	v_sub_f32_e32 v99, v99, v146
	v_add_f32_e32 v59, v59, v57
	v_add_f32_e32 v58, v70, v58
	v_mul_f32_e32 v154, 0xbf7e222b, v94
	v_mul_f32_e32 v155, 0xbf788fa5, v92
	v_add_f32_e32 v112, v111, v107
	v_add_f32_e32 v104, v56, v104
	v_add_f32_e32 v107, v151, v109
	v_add_f32_e32 v99, v57, v99
	v_sub_f32_e32 v103, v103, v150
	v_add_f32_e32 v59, v65, v59
	v_add_f32_e32 v58, v72, v58
	v_mul_f32_e32 v158, 0xbf6f5d39, v97
	v_mul_f32_e32 v159, 0xbf3f9e67, v95
	v_add_f32_e32 v104, v107, v104
	v_add_f32_e32 v107, v155, v114
	;; [unrolled: 1-line block ×3, first 2 shown]
	v_sub_f32_e32 v103, v108, v154
	v_add_f32_e32 v59, v67, v59
	v_add_f32_e32 v58, v74, v58
	v_mul_f32_e32 v162, 0xbf29c268, v101
	v_mul_f32_e32 v163, 0x3df6dbef, v98
	v_add_f32_e32 v104, v107, v104
	v_add_f32_e32 v107, v159, v119
	;; [unrolled: 1-line block ×3, first 2 shown]
	v_sub_f32_e32 v103, v113, v158
	v_add_f32_e32 v59, v61, v59
	v_add_f32_e32 v58, v76, v58
	v_mul_f32_e32 v145, 0x3f62ad3f, v89
	v_mul_f32_e32 v166, 0xbe750f2a, v106
	v_mul_f32_e32 v167, 0x3f62ad3f, v102
	v_add_f32_e32 v104, v107, v104
	v_add_f32_e32 v107, v163, v124
	v_add_f32_e32 v99, v103, v99
	v_sub_f32_e32 v103, v118, v162
	v_add_f32_e32 v59, v63, v59
	v_add_f32_e32 v58, v78, v58
	v_mul_f32_e32 v149, 0x3f116cb1, v90
	v_add_f32_e32 v104, v107, v104
	v_add_f32_e32 v107, v167, v127
	;; [unrolled: 1-line block ×3, first 2 shown]
	v_sub_f32_e32 v103, v123, v166
	v_add_f32_e32 v96, v145, v96
	v_add_f32_e32 v59, v69, v59
	;; [unrolled: 1-line block ×3, first 2 shown]
	v_fma_f32 v58, v89, s18, -v211
	v_mul_f32_e32 v153, 0x3df6dbef, v92
	v_add_f32_e32 v111, v107, v104
	v_add_f32_e32 v104, v103, v99
	;; [unrolled: 1-line block ×5, first 2 shown]
	v_fmac_f32_e32 v205, 0xbe750f2a, v91
	v_add_f32_e32 v56, v56, v58
	v_fma_f32 v58, v90, s14, -v212
	v_mul_f32_e32 v157, 0xbeb58ec6, v95
	v_add_f32_e32 v96, v99, v96
	v_add_f32_e32 v99, v153, v105
	v_add_f32_e32 v59, v73, v59
	v_add_f32_e32 v57, v57, v205
	v_fmac_f32_e32 v206, 0x3eedf032, v93
	v_add_f32_e32 v56, v58, v56
	v_fma_f32 v58, v92, s19, -v213
	v_mul_f32_e32 v161, 0xbf3f9e67, v98
	v_add_f32_e32 v96, v99, v96
	v_add_f32_e32 v99, v157, v110
	v_add_f32_e32 v59, v75, v59
	v_add_f32_e32 v57, v206, v57
	;; [unrolled: 8-line block ×3, first 2 shown]
	v_fmac_f32_e32 v208, 0x3f52af12, v97
	v_add_f32_e32 v56, v58, v56
	v_fma_f32 v58, v98, s16, -v215
	v_add_f32_e32 v96, v99, v96
	v_add_f32_e32 v99, v165, v120
	;; [unrolled: 1-line block ×4, first 2 shown]
	v_fmac_f32_e32 v209, 0xbf6f5d39, v101
	v_add_f32_e32 v56, v58, v56
	v_fma_f32 v58, v102, s17, -v136
	v_add_f32_e32 v103, v99, v96
	v_add_f32_e32 v53, v53, v59
	;; [unrolled: 1-line block ×3, first 2 shown]
	v_fmac_f32_e32 v210, 0x3f7e222b, v106
	v_add_f32_e32 v56, v58, v56
	v_lshlrev_b32_e32 v58, 3, v87
	v_add_f32_e32 v57, v210, v57
	ds_write2_b64 v58, v[52:53], v[103:104] offset1:1
	ds_write2_b64 v58, v[111:112], v[129:130] offset0:2 offset1:3
	ds_write2_b64 v58, v[134:135], v[132:133] offset0:4 offset1:5
	;; [unrolled: 1-line block ×5, first 2 shown]
	ds_write_b64 v58, v[44:45] offset:96
.LBB0_17:
	s_or_b64 exec, exec, s[12:13]
	s_waitcnt lgkmcnt(0)
	s_barrier
	ds_read2_b64 v[59:62], v85 offset1:104
	v_add_u32_e32 v52, 0x400, v85
	ds_read2_b64 v[63:66], v52 offset0:80 offset1:184
	v_add_u32_e32 v58, 0xc00, v85
	ds_read2_b64 v[67:70], v58 offset0:32 offset1:136
	;; [unrolled: 2-line block ×3, first 2 shown]
	s_waitcnt lgkmcnt(3)
	v_mul_f32_e32 v79, v25, v62
	v_mul_f32_e32 v25, v25, v61
	v_add_u32_e32 v56, 0x1800, v85
	v_fmac_f32_e32 v79, v24, v61
	v_fma_f32 v24, v24, v62, -v25
	s_waitcnt lgkmcnt(2)
	v_mul_f32_e32 v25, v27, v64
	v_mul_f32_e32 v27, v27, v63
	ds_read2_b64 v[75:78], v56 offset0:64 offset1:168
	ds_read_b64 v[52:53], v85 offset:8320
	v_fmac_f32_e32 v25, v26, v63
	v_fma_f32 v26, v26, v64, -v27
	v_mul_f32_e32 v27, v21, v66
	v_mul_f32_e32 v21, v21, v65
	v_fmac_f32_e32 v27, v20, v65
	v_fma_f32 v20, v20, v66, -v21
	s_waitcnt lgkmcnt(3)
	v_mul_f32_e32 v21, v23, v68
	v_mul_f32_e32 v23, v23, v67
	v_fmac_f32_e32 v21, v22, v67
	v_fma_f32 v22, v22, v68, -v23
	v_mul_f32_e32 v23, v17, v70
	v_mul_f32_e32 v17, v17, v69
	v_fmac_f32_e32 v23, v16, v69
	v_fma_f32 v61, v16, v70, -v17
	s_waitcnt lgkmcnt(2)
	v_mul_f32_e32 v62, v19, v72
	v_mul_f32_e32 v16, v19, v71
	;; [unrolled: 1-line block ×4, first 2 shown]
	v_fmac_f32_e32 v19, v12, v73
	v_fma_f32 v12, v12, v74, -v13
	s_waitcnt lgkmcnt(1)
	v_mul_f32_e32 v13, v15, v76
	v_mul_f32_e32 v15, v15, v75
	v_fmac_f32_e32 v62, v18, v71
	v_fma_f32 v18, v18, v72, -v16
	v_fmac_f32_e32 v13, v14, v75
	v_fma_f32 v14, v14, v76, -v15
	v_mul_f32_e32 v15, v29, v78
	v_mul_f32_e32 v16, v29, v77
	v_fmac_f32_e32 v15, v28, v77
	v_fma_f32 v28, v28, v78, -v16
	s_waitcnt lgkmcnt(0)
	v_mul_f32_e32 v29, v31, v53
	v_mul_f32_e32 v16, v31, v52
	v_add_f32_e32 v17, v60, v24
	v_fmac_f32_e32 v29, v30, v52
	v_fma_f32 v30, v30, v53, -v16
	v_add_f32_e32 v16, v59, v79
	v_add_f32_e32 v17, v17, v26
	;; [unrolled: 1-line block ×17, first 2 shown]
	v_sub_f32_e32 v24, v24, v30
	v_add_f32_e32 v16, v16, v15
	v_add_f32_e32 v17, v17, v30
	v_mul_f32_e32 v30, 0xbf0a6770, v24
	v_mul_f32_e32 v65, 0xbf68dda4, v24
	;; [unrolled: 1-line block ×5, first 2 shown]
	v_add_f32_e32 v16, v16, v29
	v_add_f32_e32 v31, v79, v29
	v_sub_f32_e32 v29, v79, v29
	s_mov_b32 s14, 0x3f575c64
	v_mov_b32_e32 v53, v30
	v_mul_f32_e32 v63, 0x3f575c64, v52
	s_mov_b32 s12, 0x3ed4b147
	v_mov_b32_e32 v66, v65
	v_mul_f32_e32 v67, 0x3ed4b147, v52
	;; [unrolled: 3-line block ×5, first 2 shown]
	v_fmac_f32_e32 v53, 0x3f575c64, v31
	v_mov_b32_e32 v64, v63
	v_fma_f32 v30, v31, s14, -v30
	v_fmac_f32_e32 v66, 0x3ed4b147, v31
	v_mov_b32_e32 v68, v67
	v_fma_f32 v65, v31, s12, -v65
	;; [unrolled: 3-line block ×5, first 2 shown]
	v_fmac_f32_e32 v52, 0xbe903f40, v29
	v_add_f32_e32 v31, v25, v15
	v_sub_f32_e32 v15, v25, v15
	v_sub_f32_e32 v25, v26, v28
	v_fmac_f32_e32 v64, 0x3f0a6770, v29
	v_fmac_f32_e32 v63, 0xbf0a6770, v29
	;; [unrolled: 1-line block ×9, first 2 shown]
	v_add_f32_e32 v29, v60, v52
	v_add_f32_e32 v52, v26, v28
	v_mul_f32_e32 v26, 0xbf68dda4, v25
	v_mov_b32_e32 v28, v26
	v_add_f32_e32 v53, v59, v53
	v_fmac_f32_e32 v28, 0x3ed4b147, v31
	v_add_f32_e32 v28, v28, v53
	v_mul_f32_e32 v53, 0x3ed4b147, v52
	v_add_f32_e32 v30, v59, v30
	v_add_f32_e32 v63, v60, v63
	v_add_f32_e32 v66, v59, v66
	v_add_f32_e32 v65, v59, v65
	v_add_f32_e32 v70, v59, v70
	v_add_f32_e32 v69, v59, v69
	v_add_f32_e32 v74, v59, v74
	v_add_f32_e32 v73, v59, v73
	v_add_f32_e32 v77, v59, v77
	v_add_f32_e32 v24, v59, v24
	v_mov_b32_e32 v59, v53
	v_fma_f32 v26, v31, s12, -v26
	v_fmac_f32_e32 v53, 0xbf68dda4, v15
	v_add_f32_e32 v26, v26, v30
	v_add_f32_e32 v30, v53, v63
	v_mul_f32_e32 v53, 0xbf4178ce, v25
	v_add_f32_e32 v64, v60, v64
	v_add_f32_e32 v68, v60, v68
	;; [unrolled: 1-line block ×8, first 2 shown]
	v_mov_b32_e32 v60, v53
	v_fma_f32 v53, v31, s15, -v53
	v_fmac_f32_e32 v59, 0x3f68dda4, v15
	v_fmac_f32_e32 v60, 0xbf27a4f4, v31
	v_mul_f32_e32 v63, 0xbf27a4f4, v52
	v_add_f32_e32 v53, v53, v65
	v_mul_f32_e32 v65, 0x3e903f40, v25
	v_add_f32_e32 v59, v59, v64
	v_add_f32_e32 v60, v60, v66
	v_mov_b32_e32 v64, v63
	v_fmac_f32_e32 v63, 0xbf4178ce, v15
	v_mov_b32_e32 v66, v65
	v_fma_f32 v65, v31, s16, -v65
	v_fmac_f32_e32 v64, 0x3f4178ce, v15
	v_add_f32_e32 v63, v63, v67
	v_fmac_f32_e32 v66, 0xbf75a155, v31
	v_mul_f32_e32 v67, 0xbf75a155, v52
	v_add_f32_e32 v65, v65, v69
	v_mul_f32_e32 v69, 0x3f7d64f0, v25
	v_add_f32_e32 v64, v64, v68
	v_add_f32_e32 v66, v66, v70
	v_mov_b32_e32 v68, v67
	v_fmac_f32_e32 v67, 0x3e903f40, v15
	v_mov_b32_e32 v70, v69
	v_fmac_f32_e32 v68, 0xbe903f40, v15
	v_add_f32_e32 v67, v67, v71
	v_fmac_f32_e32 v70, 0xbe11bafb, v31
	v_mul_f32_e32 v71, 0xbe11bafb, v52
	v_mul_f32_e32 v52, 0x3f575c64, v52
	v_add_f32_e32 v68, v68, v72
	v_add_f32_e32 v70, v70, v74
	v_mov_b32_e32 v72, v71
	v_mov_b32_e32 v74, v52
	v_fmac_f32_e32 v52, 0x3f0a6770, v15
	v_fmac_f32_e32 v72, 0xbf7d64f0, v15
	v_fma_f32 v69, v31, s13, -v69
	v_fmac_f32_e32 v71, 0x3f7d64f0, v15
	v_mul_f32_e32 v25, 0x3f0a6770, v25
	v_fmac_f32_e32 v74, 0xbf0a6770, v15
	v_add_f32_e32 v15, v52, v29
	v_add_f32_e32 v29, v20, v14
	v_sub_f32_e32 v14, v20, v14
	v_add_f32_e32 v69, v69, v73
	v_mov_b32_e32 v73, v25
	v_fma_f32 v25, v31, s14, -v25
	v_mul_f32_e32 v20, 0xbf7d64f0, v14
	v_add_f32_e32 v24, v25, v24
	v_add_f32_e32 v25, v27, v13
	v_sub_f32_e32 v13, v27, v13
	v_mov_b32_e32 v27, v20
	v_fmac_f32_e32 v27, 0xbe11bafb, v25
	v_add_f32_e32 v27, v27, v28
	v_mul_f32_e32 v28, 0xbe11bafb, v29
	v_fmac_f32_e32 v73, 0x3f575c64, v31
	v_mov_b32_e32 v31, v28
	v_fma_f32 v20, v25, s13, -v20
	v_fmac_f32_e32 v28, 0xbf7d64f0, v13
	v_add_f32_e32 v20, v20, v26
	v_add_f32_e32 v26, v28, v30
	v_mul_f32_e32 v28, 0x3e903f40, v14
	v_mov_b32_e32 v30, v28
	v_fma_f32 v28, v25, s16, -v28
	v_fmac_f32_e32 v31, 0x3f7d64f0, v13
	v_fmac_f32_e32 v30, 0xbf75a155, v25
	v_mul_f32_e32 v52, 0xbf75a155, v29
	v_add_f32_e32 v28, v28, v53
	v_mul_f32_e32 v53, 0x3f68dda4, v14
	v_add_f32_e32 v31, v31, v59
	v_add_f32_e32 v30, v30, v60
	v_mov_b32_e32 v59, v52
	v_fmac_f32_e32 v52, 0x3e903f40, v13
	v_mov_b32_e32 v60, v53
	v_fma_f32 v53, v25, s12, -v53
	v_fmac_f32_e32 v59, 0xbe903f40, v13
	v_add_f32_e32 v52, v52, v63
	v_fmac_f32_e32 v60, 0x3ed4b147, v25
	v_mul_f32_e32 v63, 0x3ed4b147, v29
	v_add_f32_e32 v53, v53, v65
	v_mul_f32_e32 v65, 0xbf0a6770, v14
	v_add_f32_e32 v59, v59, v64
	v_add_f32_e32 v60, v60, v66
	v_mov_b32_e32 v64, v63
	v_fmac_f32_e32 v63, 0x3f68dda4, v13
	v_mov_b32_e32 v66, v65
	v_fma_f32 v65, v25, s14, -v65
	v_mul_f32_e32 v14, 0xbf4178ce, v14
	v_fmac_f32_e32 v64, 0xbf68dda4, v13
	v_add_f32_e32 v63, v63, v67
	v_fmac_f32_e32 v66, 0x3f575c64, v25
	v_mul_f32_e32 v67, 0x3f575c64, v29
	v_add_f32_e32 v65, v65, v69
	v_mov_b32_e32 v69, v14
	v_mul_f32_e32 v29, 0xbf27a4f4, v29
	v_fma_f32 v14, v25, s15, -v14
	v_add_f32_e32 v64, v64, v68
	v_add_f32_e32 v66, v66, v70
	v_mov_b32_e32 v68, v67
	v_mov_b32_e32 v70, v29
	v_add_f32_e32 v14, v14, v24
	v_fmac_f32_e32 v29, 0xbf4178ce, v13
	v_add_f32_e32 v24, v22, v12
	v_sub_f32_e32 v12, v22, v12
	v_fmac_f32_e32 v68, 0x3f0a6770, v13
	v_fmac_f32_e32 v67, 0xbf0a6770, v13
	;; [unrolled: 1-line block ×3, first 2 shown]
	v_add_f32_e32 v13, v29, v15
	v_add_f32_e32 v15, v21, v19
	v_sub_f32_e32 v19, v21, v19
	v_mul_f32_e32 v21, 0xbf4178ce, v12
	v_mov_b32_e32 v22, v21
	v_fmac_f32_e32 v69, 0xbf27a4f4, v25
	v_fmac_f32_e32 v22, 0xbf27a4f4, v15
	v_mul_f32_e32 v25, 0xbf27a4f4, v24
	v_add_f32_e32 v22, v22, v27
	v_mov_b32_e32 v27, v25
	v_fma_f32 v21, v15, s15, -v21
	v_fmac_f32_e32 v25, 0xbf4178ce, v19
	v_add_f32_e32 v20, v21, v20
	v_add_f32_e32 v21, v25, v26
	v_mul_f32_e32 v25, 0x3f7d64f0, v12
	v_mov_b32_e32 v26, v25
	v_fmac_f32_e32 v26, 0xbe11bafb, v15
	v_mul_f32_e32 v29, 0xbe11bafb, v24
	v_add_f32_e32 v26, v26, v30
	v_mov_b32_e32 v30, v29
	v_fma_f32 v25, v15, s13, -v25
	v_fmac_f32_e32 v29, 0x3f7d64f0, v19
	v_fmac_f32_e32 v27, 0x3f4178ce, v19
	v_add_f32_e32 v25, v25, v28
	v_add_f32_e32 v28, v29, v52
	v_mul_f32_e32 v29, 0xbf0a6770, v12
	v_add_f32_e32 v27, v27, v31
	v_fmac_f32_e32 v30, 0xbf7d64f0, v19
	v_mov_b32_e32 v31, v29
	v_mul_f32_e32 v52, 0x3f575c64, v24
	v_add_f32_e32 v30, v30, v59
	v_fmac_f32_e32 v31, 0x3f575c64, v15
	v_mov_b32_e32 v59, v52
	v_fmac_f32_e32 v52, 0xbf0a6770, v19
	v_add_f32_e32 v31, v31, v60
	v_fma_f32 v29, v15, s14, -v29
	v_add_f32_e32 v60, v52, v63
	v_mul_f32_e32 v52, 0xbe903f40, v12
	v_add_f32_e32 v29, v29, v53
	v_mov_b32_e32 v53, v52
	v_fmac_f32_e32 v53, 0xbf75a155, v15
	v_fma_f32 v52, v15, s16, -v52
	v_mul_f32_e32 v12, 0x3f68dda4, v12
	v_add_f32_e32 v71, v71, v75
	v_add_f32_e32 v73, v73, v77
	v_fmac_f32_e32 v59, 0x3f0a6770, v19
	v_add_f32_e32 v63, v53, v66
	v_mul_f32_e32 v53, 0xbf75a155, v24
	v_add_f32_e32 v65, v52, v65
	v_mov_b32_e32 v52, v12
	v_add_f32_e32 v72, v72, v76
	v_add_f32_e32 v67, v67, v71
	;; [unrolled: 1-line block ×4, first 2 shown]
	v_mov_b32_e32 v64, v53
	v_fmac_f32_e32 v53, 0xbe903f40, v19
	v_fmac_f32_e32 v52, 0x3ed4b147, v15
	v_mul_f32_e32 v24, 0x3ed4b147, v24
	v_add_f32_e32 v74, v74, v78
	v_add_f32_e32 v68, v68, v72
	;; [unrolled: 1-line block ×4, first 2 shown]
	v_mov_b32_e32 v52, v24
	v_fma_f32 v12, v15, s12, -v12
	v_add_f32_e32 v72, v61, v18
	v_sub_f32_e32 v61, v61, v18
	v_add_f32_e32 v70, v70, v74
	v_fmac_f32_e32 v64, 0x3e903f40, v19
	v_fmac_f32_e32 v52, 0xbf68dda4, v19
	v_add_f32_e32 v69, v12, v14
	v_fmac_f32_e32 v24, 0x3f68dda4, v19
	v_mul_f32_e32 v12, 0xbe903f40, v61
	v_add_f32_e32 v64, v64, v68
	v_add_f32_e32 v68, v52, v70
	;; [unrolled: 1-line block ×4, first 2 shown]
	v_mov_b32_e32 v13, v12
	v_fmac_f32_e32 v13, 0xbf75a155, v71
	v_sub_f32_e32 v62, v23, v62
	v_add_f32_e32 v18, v13, v22
	v_mul_f32_e32 v13, 0xbf75a155, v72
	v_fma_f32 v12, v71, s16, -v12
	v_mov_b32_e32 v14, v13
	v_add_f32_e32 v52, v12, v20
	v_fmac_f32_e32 v13, 0xbe903f40, v62
	v_mul_f32_e32 v12, 0x3f0a6770, v61
	v_add_f32_e32 v53, v13, v21
	v_mov_b32_e32 v13, v12
	v_fmac_f32_e32 v13, 0x3f575c64, v71
	v_fmac_f32_e32 v14, 0x3e903f40, v62
	v_add_f32_e32 v20, v13, v26
	v_mul_f32_e32 v13, 0x3f575c64, v72
	v_add_f32_e32 v19, v14, v27
	v_mov_b32_e32 v14, v13
	v_fmac_f32_e32 v14, 0xbf0a6770, v62
	v_fma_f32 v12, v71, s14, -v12
	v_add_f32_e32 v21, v14, v30
	v_add_f32_e32 v14, v12, v25
	v_fmac_f32_e32 v13, 0x3f0a6770, v62
	v_mul_f32_e32 v12, 0xbf4178ce, v61
	v_add_f32_e32 v15, v13, v28
	v_mov_b32_e32 v13, v12
	v_fmac_f32_e32 v13, 0xbf27a4f4, v71
	v_add_f32_e32 v22, v13, v31
	v_mul_f32_e32 v13, 0xbf27a4f4, v72
	v_fma_f32 v12, v71, s15, -v12
	v_mul_f32_e32 v26, 0x3f68dda4, v61
	v_mul_f32_e32 v27, 0x3ed4b147, v72
	v_mul_f32_e32 v30, 0xbf7d64f0, v61
	v_mul_f32_e32 v31, 0xbe11bafb, v72
	v_mov_b32_e32 v23, v13
	v_add_f32_e32 v12, v12, v29
	v_mov_b32_e32 v24, v26
	v_mov_b32_e32 v25, v27
	;; [unrolled: 1-line block ×4, first 2 shown]
	v_fmac_f32_e32 v23, 0x3f4178ce, v62
	v_fmac_f32_e32 v24, 0x3ed4b147, v71
	;; [unrolled: 1-line block ×3, first 2 shown]
	v_fma_f32 v26, v71, s12, -v26
	v_fmac_f32_e32 v27, 0x3f68dda4, v62
	v_fmac_f32_e32 v28, 0xbe11bafb, v71
	;; [unrolled: 1-line block ×3, first 2 shown]
	v_fma_f32 v30, v71, s13, -v30
	v_fmac_f32_e32 v31, 0xbf7d64f0, v62
	v_add_f32_e32 v23, v23, v59
	v_fmac_f32_e32 v13, 0xbf4178ce, v62
	v_add_f32_e32 v24, v24, v63
	v_add_f32_e32 v25, v25, v64
	;; [unrolled: 1-line block ×8, first 2 shown]
	v_add_u32_e32 v59, 0x800, v85
	v_add_f32_e32 v13, v13, v60
	s_barrier
	ds_write2_b64 v88, v[16:17], v[18:19] offset1:13
	ds_write2_b64 v88, v[20:21], v[22:23] offset0:26 offset1:39
	ds_write2_b64 v88, v[24:25], v[28:29] offset0:52 offset1:65
	;; [unrolled: 1-line block ×4, first 2 shown]
	ds_write_b64 v88, v[52:53] offset:1040
	s_waitcnt lgkmcnt(0)
	s_barrier
	ds_read2_b64 v[16:19], v85 offset1:143
	ds_read2_b64 v[28:31], v59 offset0:30 offset1:173
	ds_read2_b64 v[24:27], v57 offset0:60 offset1:203
	;; [unrolled: 1-line block ×3, first 2 shown]
	s_and_saveexec_b64 s[12:13], s[2:3]
	s_cbranch_execz .LBB0_19
; %bb.18:
	v_add_u32_e32 v44, 0x1400, v85
	v_add_u32_e32 v48, 0x1c00, v85
	ds_read2_b64 v[12:15], v85 offset0:104 offset1:247
	ds_read2_b64 v[52:55], v58 offset0:6 offset1:149
	;; [unrolled: 1-line block ×4, first 2 shown]
.LBB0_19:
	s_or_b64 exec, exec, s[12:13]
	s_waitcnt lgkmcnt(3)
	v_mul_f32_e32 v58, v37, v19
	v_fmac_f32_e32 v58, v36, v18
	v_mul_f32_e32 v18, v37, v18
	v_fma_f32 v18, v36, v19, -v18
	s_waitcnt lgkmcnt(2)
	v_mul_f32_e32 v19, v39, v29
	v_fmac_f32_e32 v19, v38, v28
	v_mul_f32_e32 v28, v39, v28
	v_fma_f32 v28, v38, v29, -v28
	v_mul_f32_e32 v29, v33, v31
	v_fmac_f32_e32 v29, v32, v30
	v_mul_f32_e32 v30, v33, v30
	v_fma_f32 v30, v32, v31, -v30
	s_waitcnt lgkmcnt(1)
	v_mul_f32_e32 v31, v35, v25
	v_fmac_f32_e32 v31, v34, v24
	v_mul_f32_e32 v24, v35, v24
	v_fma_f32 v24, v34, v25, -v24
	;; [unrolled: 9-line block ×3, first 2 shown]
	v_mul_f32_e32 v21, v84, v23
	v_fmac_f32_e32 v21, v83, v22
	v_mul_f32_e32 v22, v84, v22
	v_fma_f32 v22, v83, v23, -v22
	v_sub_f32_e32 v23, v16, v31
	v_sub_f32_e32 v27, v19, v27
	;; [unrolled: 1-line block ×5, first 2 shown]
	v_fma_f32 v16, v16, 2.0, -v23
	v_sub_f32_e32 v20, v28, v20
	v_fma_f32 v19, v19, 2.0, -v27
	v_sub_f32_e32 v26, v18, v26
	;; [unrolled: 2-line block ×3, first 2 shown]
	v_fma_f32 v29, v29, 2.0, -v21
	v_fma_f32 v18, v18, 2.0, -v26
	;; [unrolled: 1-line block ×3, first 2 shown]
	v_sub_f32_e32 v32, v16, v19
	v_add_f32_e32 v34, v23, v20
	v_sub_f32_e32 v35, v24, v27
	v_sub_f32_e32 v27, v31, v29
	v_fma_f32 v17, v17, 2.0, -v24
	v_fma_f32 v19, v16, 2.0, -v32
	;; [unrolled: 1-line block ×4, first 2 shown]
	v_sub_f32_e32 v29, v18, v30
	v_fma_f32 v16, v31, 2.0, -v27
	v_add_f32_e32 v30, v25, v22
	v_sub_f32_e32 v31, v26, v21
	v_fma_f32 v28, v28, 2.0, -v20
	v_fma_f32 v22, v25, 2.0, -v30
	v_fma_f32 v25, v26, 2.0, -v31
	v_mov_b32_e32 v20, v23
	v_mov_b32_e32 v21, v24
	v_sub_f32_e32 v28, v17, v28
	v_fmac_f32_e32 v20, 0xbf3504f3, v22
	v_fmac_f32_e32 v21, 0xbf3504f3, v25
	;; [unrolled: 1-line block ×4, first 2 shown]
	v_sub_f32_e32 v25, v28, v27
	v_fma_f32 v33, v17, 2.0, -v28
	v_fma_f32 v17, v18, 2.0, -v29
	;; [unrolled: 1-line block ×4, first 2 shown]
	v_add_f32_e32 v24, v32, v29
	v_fma_f32 v27, v28, 2.0, -v25
	v_mov_b32_e32 v28, v34
	v_mov_b32_e32 v29, v35
	v_sub_f32_e32 v16, v19, v16
	v_sub_f32_e32 v17, v33, v17
	v_fmac_f32_e32 v28, 0x3f3504f3, v30
	v_fmac_f32_e32 v29, 0x3f3504f3, v31
	v_fma_f32 v18, v19, 2.0, -v16
	v_fma_f32 v19, v33, 2.0, -v17
	v_fmac_f32_e32 v28, 0x3f3504f3, v31
	v_fmac_f32_e32 v29, 0xbf3504f3, v30
	v_fma_f32 v26, v32, 2.0, -v24
	v_fma_f32 v30, v34, 2.0, -v28
	;; [unrolled: 1-line block ×3, first 2 shown]
	ds_write2_b64 v85, v[18:19], v[22:23] offset1:143
	ds_write2_b64 v59, v[26:27], v[30:31] offset0:30 offset1:173
	ds_write2_b64 v57, v[16:17], v[20:21] offset0:60 offset1:203
	ds_write2_b64 v56, v[24:25], v[28:29] offset0:90 offset1:233
	s_and_saveexec_b64 s[12:13], s[2:3]
	s_cbranch_execz .LBB0_21
; %bb.20:
	v_mul_f32_e32 v16, v3, v44
	v_fma_f32 v16, v2, v45, -v16
	v_mul_f32_e32 v23, v1, v55
	v_mul_f32_e32 v1, v1, v54
	v_sub_f32_e32 v17, v13, v16
	v_mul_f32_e32 v18, v11, v53
	v_mul_f32_e32 v16, v7, v49
	v_fmac_f32_e32 v23, v0, v54
	v_fma_f32 v26, v0, v55, -v1
	v_mul_f32_e32 v0, v82, v50
	v_fmac_f32_e32 v18, v10, v52
	v_fmac_f32_e32 v16, v6, v48
	v_fma_f32 v0, v81, v51, -v0
	v_sub_f32_e32 v19, v18, v16
	v_mul_f32_e32 v16, v9, v14
	v_sub_f32_e32 v27, v26, v0
	v_mul_f32_e32 v9, v9, v15
	v_mul_f32_e32 v0, v5, v47
	v_fmac_f32_e32 v9, v8, v14
	v_fmac_f32_e32 v0, v4, v46
	v_fma_f32 v21, v8, v15, -v16
	v_mul_f32_e32 v16, v5, v46
	v_sub_f32_e32 v8, v9, v0
	v_mul_f32_e32 v0, v11, v52
	v_fma_f32 v16, v4, v47, -v16
	v_fma_f32 v4, v10, v53, -v0
	v_mul_f32_e32 v0, v7, v48
	v_fma_f32 v0, v6, v49, -v0
	v_sub_f32_e32 v5, v4, v0
	v_mul_f32_e32 v0, v3, v45
	v_fmac_f32_e32 v0, v2, v44
	v_sub_f32_e32 v22, v21, v16
	v_mul_f32_e32 v16, v82, v51
	v_sub_f32_e32 v6, v12, v0
	v_fmac_f32_e32 v16, v81, v50
	v_add_f32_e32 v10, v5, v6
	v_sub_f32_e32 v24, v23, v16
	v_add_f32_e32 v14, v27, v8
	v_mov_b32_e32 v15, v10
	v_sub_f32_e32 v25, v22, v24
	v_fmac_f32_e32 v15, 0x3f3504f3, v14
	v_fmac_f32_e32 v15, 0x3f3504f3, v25
	v_fma_f32 v11, v13, 2.0, -v17
	v_fma_f32 v2, v4, 2.0, -v5
	v_sub_f32_e32 v20, v17, v19
	v_fma_f32 v0, v10, 2.0, -v15
	v_sub_f32_e32 v13, v11, v2
	v_fma_f32 v28, v9, 2.0, -v8
	v_fma_f32 v2, v23, 2.0, -v24
	;; [unrolled: 1-line block ×3, first 2 shown]
	v_sub_f32_e32 v23, v28, v2
	v_fma_f32 v12, v12, 2.0, -v6
	v_fma_f32 v2, v18, 2.0, -v19
	;; [unrolled: 1-line block ×4, first 2 shown]
	v_mov_b32_e32 v6, v10
	v_sub_f32_e32 v18, v12, v2
	v_fma_f32 v19, v21, 2.0, -v22
	v_fma_f32 v2, v26, 2.0, -v27
	;; [unrolled: 1-line block ×3, first 2 shown]
	v_mov_b32_e32 v7, v9
	v_fmac_f32_e32 v6, 0xbf3504f3, v8
	v_sub_f32_e32 v21, v19, v2
	v_fmac_f32_e32 v7, 0xbf3504f3, v17
	v_fmac_f32_e32 v6, 0x3f3504f3, v17
	;; [unrolled: 1-line block ×3, first 2 shown]
	v_fma_f32 v8, v10, 2.0, -v6
	v_fma_f32 v10, v11, 2.0, -v13
	;; [unrolled: 1-line block ×3, first 2 shown]
	v_sub_f32_e32 v3, v13, v23
	v_sub_f32_e32 v11, v10, v11
	v_mov_b32_e32 v16, v20
	v_fma_f32 v5, v13, 2.0, -v3
	v_fma_f32 v13, v10, 2.0, -v11
	;; [unrolled: 1-line block ×4, first 2 shown]
	v_fmac_f32_e32 v16, 0x3f3504f3, v25
	v_sub_f32_e32 v10, v12, v10
	v_fmac_f32_e32 v16, 0xbf3504f3, v14
	v_add_f32_e32 v2, v18, v21
	v_fma_f32 v9, v9, 2.0, -v7
	v_fma_f32 v12, v12, 2.0, -v10
	;; [unrolled: 1-line block ×4, first 2 shown]
	ds_write2_b64 v85, v[12:13], v[8:9] offset0:104 offset1:247
	v_add_u32_e32 v8, 0xc00, v85
	ds_write2_b64 v8, v[4:5], v[0:1] offset0:6 offset1:149
	v_add_u32_e32 v0, 0x1400, v85
	;; [unrolled: 2-line block ×3, first 2 shown]
	ds_write2_b64 v0, v[2:3], v[15:16] offset0:66 offset1:209
.LBB0_21:
	s_or_b64 exec, exec, s[12:13]
	s_waitcnt lgkmcnt(0)
	s_barrier
	s_and_b64 exec, exec, s[0:1]
	s_cbranch_execz .LBB0_23
; %bb.22:
	global_load_dwordx2 v[8:9], v85, s[10:11]
	global_load_dwordx2 v[10:11], v85, s[10:11] offset:704
	global_load_dwordx2 v[12:13], v85, s[10:11] offset:1408
	;; [unrolled: 1-line block ×3, first 2 shown]
	ds_read_b64 v[16:17], v85
	ds_read2_b64 v[0:3], v85 offset0:88 offset1:176
	global_load_dwordx2 v[22:23], v85, s[10:11] offset:2816
	global_load_dwordx2 v[24:25], v85, s[10:11] offset:3520
	v_mad_u64_u32 v[18:19], s[0:1], s6, v80, 0
	v_mad_u64_u32 v[20:21], s[2:3], s4, v86, 0
	v_mov_b32_e32 v4, s11
	v_add_co_u32_e32 v37, vcc, s10, v85
	s_mul_i32 s3, s5, 0x2c0
	s_mul_hi_u32 s6, s4, 0x2c0
	s_mul_i32 s2, s4, 0x2c0
	s_movk_i32 s4, 0x1000
	v_addc_co_u32_e32 v38, vcc, 0, v4, vcc
	s_add_i32 s3, s6, s3
	v_add_co_u32_e32 v26, vcc, s4, v37
	v_mad_u64_u32 v[28:29], s[6:7], s7, v80, v[19:20]
	v_add_u32_e32 v5, 0x800, v85
	v_addc_co_u32_e32 v27, vcc, 0, v38, vcc
	ds_read2_b64 v[4:7], v5 offset0:8 offset1:96
	v_mov_b32_e32 v19, v28
	v_lshlrev_b64 v[18:19], 3, v[18:19]
	v_mov_b32_e32 v36, s9
	v_add_co_u32_e32 v18, vcc, s8, v18
	v_addc_co_u32_e32 v19, vcc, v36, v19, vcc
	v_mov_b32_e32 v39, s3
	s_mov_b32 s0, 0x55ee191
	s_mov_b32 s1, 0x3f4ca4b3
	v_mov_b32_e32 v40, s3
	s_waitcnt vmcnt(5) lgkmcnt(2)
	v_mul_f32_e32 v28, v17, v9
	v_mul_f32_e32 v9, v16, v9
	s_waitcnt vmcnt(3) lgkmcnt(1)
	v_mul_f32_e32 v36, v3, v13
	v_mul_f32_e32 v13, v2, v13
	v_fmac_f32_e32 v28, v16, v8
	s_waitcnt vmcnt(1)
	v_mad_u64_u32 v[29:30], s[4:5], s5, v86, v[21:22]
	global_load_dwordx2 v[30:31], v[26:27], off offset:128
	global_load_dwordx2 v[32:33], v[26:27], off offset:832
	;; [unrolled: 1-line block ×3, first 2 shown]
	v_fma_f32 v8, v8, v17, -v9
	v_mov_b32_e32 v21, v29
	v_lshlrev_b64 v[20:21], 3, v[20:21]
	v_mul_f32_e32 v29, v1, v11
	v_add_co_u32_e32 v18, vcc, v18, v20
	v_addc_co_u32_e32 v19, vcc, v19, v21, vcc
	v_add_co_u32_e32 v20, vcc, s2, v18
	v_mul_f32_e32 v11, v0, v11
	v_addc_co_u32_e32 v21, vcc, v19, v39, vcc
	s_waitcnt lgkmcnt(0)
	v_mul_f32_e32 v39, v5, v15
	v_mul_f32_e32 v15, v4, v15
	v_fmac_f32_e32 v29, v0, v10
	v_fma_f32 v9, v10, v1, -v11
	v_fmac_f32_e32 v36, v2, v12
	v_fma_f32 v12, v12, v3, -v13
	v_cvt_f64_f32_e32 v[0:1], v28
	v_cvt_f64_f32_e32 v[2:3], v8
	v_fmac_f32_e32 v39, v4, v14
	v_fma_f32 v16, v14, v5, -v15
	v_cvt_f64_f32_e32 v[4:5], v29
	v_cvt_f64_f32_e32 v[8:9], v9
	v_mul_f64 v[0:1], v[0:1], s[0:1]
	v_mul_f64 v[2:3], v[2:3], s[0:1]
	;; [unrolled: 1-line block ×4, first 2 shown]
	v_cvt_f64_f32_e32 v[10:11], v36
	v_cvt_f64_f32_e32 v[12:13], v12
	;; [unrolled: 1-line block ×4, first 2 shown]
	v_cvt_f32_f64_e32 v0, v[0:1]
	v_cvt_f32_f64_e32 v1, v[2:3]
	;; [unrolled: 1-line block ×4, first 2 shown]
	v_mul_f64 v[10:11], v[10:11], s[0:1]
	v_mul_f64 v[12:13], v[12:13], s[0:1]
	global_store_dwordx2 v[18:19], v[0:1], off
	global_store_dwordx2 v[20:21], v[2:3], off
	v_mul_f32_e32 v0, v7, v23
	v_fmac_f32_e32 v0, v6, v22
	v_mul_f64 v[14:15], v[14:15], s[0:1]
	v_mul_f64 v[16:17], v[16:17], s[0:1]
	v_cvt_f64_f32_e32 v[0:1], v0
	v_cvt_f32_f64_e32 v4, v[10:11]
	v_cvt_f32_f64_e32 v5, v[12:13]
	v_add_co_u32_e32 v8, vcc, s2, v20
	v_mul_f64 v[10:11], v[0:1], s[0:1]
	v_mul_f32_e32 v0, v6, v23
	v_fma_f32 v0, v22, v7, -v0
	global_load_dwordx2 v[6:7], v[26:27], off offset:2240
	v_addc_co_u32_e32 v9, vcc, v21, v40, vcc
	global_store_dwordx2 v[8:9], v[4:5], off
	v_cvt_f32_f64_e32 v4, v[14:15]
	v_cvt_f32_f64_e32 v5, v[16:17]
	v_cvt_f64_f32_e32 v[12:13], v0
	v_add_u32_e32 v0, 0xc00, v85
	ds_read2_b64 v[0:3], v0 offset0:56 offset1:144
	v_mov_b32_e32 v14, s3
	v_add_co_u32_e32 v8, vcc, s2, v8
	v_addc_co_u32_e32 v9, vcc, v9, v14, vcc
	global_store_dwordx2 v[8:9], v[4:5], off
	v_mul_f64 v[4:5], v[12:13], s[0:1]
	v_cvt_f32_f64_e32 v10, v[10:11]
	s_waitcnt vmcnt(8) lgkmcnt(0)
	v_mul_f32_e32 v11, v1, v25
	v_fmac_f32_e32 v11, v0, v24
	v_cvt_f64_f32_e32 v[12:13], v11
	v_add_co_u32_e32 v8, vcc, s2, v8
	v_addc_co_u32_e32 v9, vcc, v9, v14, vcc
	v_cvt_f32_f64_e32 v11, v[4:5]
	v_mul_f64 v[4:5], v[12:13], s[0:1]
	global_load_dwordx2 v[12:13], v[26:27], off offset:2944
	global_load_dwordx2 v[14:15], v[26:27], off offset:3648
	v_mul_f32_e32 v0, v0, v25
	v_fma_f32 v0, v24, v1, -v0
	v_cvt_f64_f32_e32 v[0:1], v0
	global_store_dwordx2 v[8:9], v[10:11], off
	v_mov_b32_e32 v18, s3
	v_cvt_f32_f64_e32 v4, v[4:5]
	v_mul_f64 v[0:1], v[0:1], s[0:1]
	v_add_co_u32_e32 v8, vcc, s2, v8
	v_addc_co_u32_e32 v9, vcc, v9, v18, vcc
	s_movk_i32 s4, 0x2000
	v_cvt_f32_f64_e32 v5, v[0:1]
	s_waitcnt vmcnt(10)
	v_mul_f32_e32 v0, v3, v31
	v_fmac_f32_e32 v0, v2, v30
	v_cvt_f64_f32_e32 v[10:11], v0
	v_mul_f32_e32 v0, v2, v31
	v_fma_f32 v0, v30, v3, -v0
	v_cvt_f64_f32_e32 v[16:17], v0
	v_add_u32_e32 v0, 0x1000, v85
	ds_read2_b64 v[0:3], v0 offset0:104 offset1:192
	global_store_dwordx2 v[8:9], v[4:5], off
	v_mul_f64 v[4:5], v[10:11], s[0:1]
	v_mul_f64 v[10:11], v[16:17], s[0:1]
	v_add_co_u32_e32 v8, vcc, s2, v8
	s_waitcnt vmcnt(10) lgkmcnt(0)
	v_mul_f32_e32 v16, v1, v33
	v_fmac_f32_e32 v16, v0, v32
	v_mul_f32_e32 v0, v0, v33
	v_fma_f32 v0, v32, v1, -v0
	v_cvt_f64_f32_e32 v[0:1], v0
	v_cvt_f64_f32_e32 v[16:17], v16
	v_cvt_f32_f64_e32 v4, v[4:5]
	v_cvt_f32_f64_e32 v5, v[10:11]
	v_mul_f64 v[0:1], v[0:1], s[0:1]
	v_mul_f64 v[10:11], v[16:17], s[0:1]
	v_mov_b32_e32 v16, s3
	v_addc_co_u32_e32 v9, vcc, v9, v16, vcc
	global_store_dwordx2 v[8:9], v[4:5], off
	v_add_co_u32_e32 v8, vcc, s2, v8
	v_cvt_f32_f64_e32 v5, v[0:1]
	s_waitcnt vmcnt(10)
	v_mul_f32_e32 v0, v3, v35
	v_fmac_f32_e32 v0, v2, v34
	v_cvt_f32_f64_e32 v4, v[10:11]
	v_cvt_f64_f32_e32 v[10:11], v0
	v_mul_f32_e32 v0, v2, v35
	v_fma_f32 v0, v34, v3, -v0
	v_cvt_f64_f32_e32 v[16:17], v0
	v_add_u32_e32 v0, 0x1800, v85
	ds_read2_b64 v[0:3], v0 offset0:24 offset1:112
	v_addc_co_u32_e32 v9, vcc, v9, v18, vcc
	global_store_dwordx2 v[8:9], v[4:5], off
	v_mul_f64 v[4:5], v[10:11], s[0:1]
	v_mul_f64 v[10:11], v[16:17], s[0:1]
	s_waitcnt vmcnt(8) lgkmcnt(0)
	v_mul_f32_e32 v16, v1, v7
	v_fmac_f32_e32 v16, v0, v6
	v_mul_f32_e32 v0, v0, v7
	v_fma_f32 v0, v6, v1, -v0
	v_cvt_f64_f32_e32 v[0:1], v0
	v_cvt_f64_f32_e32 v[16:17], v16
	v_cvt_f32_f64_e32 v4, v[4:5]
	v_cvt_f32_f64_e32 v5, v[10:11]
	v_mul_f64 v[0:1], v[0:1], s[0:1]
	v_mul_f64 v[6:7], v[16:17], s[0:1]
	v_mov_b32_e32 v10, s3
	v_add_co_u32_e32 v8, vcc, s2, v8
	v_addc_co_u32_e32 v9, vcc, v9, v10, vcc
	global_store_dwordx2 v[8:9], v[4:5], off
	v_cvt_f32_f64_e32 v5, v[0:1]
	v_cvt_f32_f64_e32 v4, v[6:7]
	v_mov_b32_e32 v16, s3
	s_waitcnt vmcnt(6)
	v_mul_f32_e32 v0, v3, v13
	v_fmac_f32_e32 v0, v2, v12
	v_cvt_f64_f32_e32 v[6:7], v0
	v_mul_f32_e32 v0, v2, v13
	v_fma_f32 v0, v12, v3, -v0
	v_cvt_f64_f32_e32 v[10:11], v0
	v_add_u32_e32 v0, 0x1c00, v85
	ds_read2_b64 v[0:3], v0 offset0:72 offset1:160
	v_add_co_u32_e32 v8, vcc, s2, v8
	v_addc_co_u32_e32 v9, vcc, v9, v16, vcc
	global_store_dwordx2 v[8:9], v[4:5], off
	v_mul_f64 v[4:5], v[6:7], s[0:1]
	v_mul_f64 v[6:7], v[10:11], s[0:1]
	s_waitcnt vmcnt(6) lgkmcnt(0)
	v_mul_f32_e32 v10, v1, v15
	v_fmac_f32_e32 v10, v0, v14
	v_mul_f32_e32 v0, v0, v15
	v_fma_f32 v0, v14, v1, -v0
	v_cvt_f64_f32_e32 v[10:11], v10
	v_cvt_f64_f32_e32 v[0:1], v0
	v_cvt_f32_f64_e32 v4, v[4:5]
	v_cvt_f32_f64_e32 v5, v[6:7]
	v_mul_f64 v[6:7], v[10:11], s[0:1]
	v_mul_f64 v[0:1], v[0:1], s[0:1]
	v_mov_b32_e32 v10, s3
	v_add_co_u32_e32 v8, vcc, s2, v8
	v_addc_co_u32_e32 v9, vcc, v9, v10, vcc
	global_store_dwordx2 v[8:9], v[4:5], off
	v_cvt_f32_f64_e32 v4, v[6:7]
	v_cvt_f32_f64_e32 v5, v[0:1]
	v_mov_b32_e32 v1, s3
	v_add_co_u32_e32 v0, vcc, s2, v8
	v_addc_co_u32_e32 v1, vcc, v9, v1, vcc
	global_store_dwordx2 v[0:1], v[4:5], off
	v_add_co_u32_e32 v4, vcc, s4, v37
	v_addc_co_u32_e32 v5, vcc, 0, v38, vcc
	global_load_dwordx2 v[4:5], v[4:5], off offset:256
	v_add_co_u32_e32 v0, vcc, s2, v0
	s_waitcnt vmcnt(0)
	v_mul_f32_e32 v6, v3, v5
	v_fmac_f32_e32 v6, v2, v4
	v_mul_f32_e32 v2, v2, v5
	v_fma_f32 v2, v4, v3, -v2
	v_cvt_f64_f32_e32 v[6:7], v6
	v_cvt_f64_f32_e32 v[2:3], v2
	v_mul_f64 v[4:5], v[6:7], s[0:1]
	v_mul_f64 v[2:3], v[2:3], s[0:1]
	v_cvt_f32_f64_e32 v4, v[4:5]
	v_cvt_f32_f64_e32 v5, v[2:3]
	v_mov_b32_e32 v2, s3
	v_addc_co_u32_e32 v1, vcc, v1, v2, vcc
	global_store_dwordx2 v[0:1], v[4:5], off
.LBB0_23:
	s_endpgm
	.section	.rodata,"a",@progbits
	.p2align	6, 0x0
	.amdhsa_kernel bluestein_single_back_len1144_dim1_sp_op_CI_CI
		.amdhsa_group_segment_fixed_size 9152
		.amdhsa_private_segment_fixed_size 0
		.amdhsa_kernarg_size 104
		.amdhsa_user_sgpr_count 6
		.amdhsa_user_sgpr_private_segment_buffer 1
		.amdhsa_user_sgpr_dispatch_ptr 0
		.amdhsa_user_sgpr_queue_ptr 0
		.amdhsa_user_sgpr_kernarg_segment_ptr 1
		.amdhsa_user_sgpr_dispatch_id 0
		.amdhsa_user_sgpr_flat_scratch_init 0
		.amdhsa_user_sgpr_private_segment_size 0
		.amdhsa_uses_dynamic_stack 0
		.amdhsa_system_sgpr_private_segment_wavefront_offset 0
		.amdhsa_system_sgpr_workgroup_id_x 1
		.amdhsa_system_sgpr_workgroup_id_y 0
		.amdhsa_system_sgpr_workgroup_id_z 0
		.amdhsa_system_sgpr_workgroup_info 0
		.amdhsa_system_vgpr_workitem_id 0
		.amdhsa_next_free_vgpr 216
		.amdhsa_next_free_sgpr 20
		.amdhsa_reserve_vcc 1
		.amdhsa_reserve_flat_scratch 0
		.amdhsa_float_round_mode_32 0
		.amdhsa_float_round_mode_16_64 0
		.amdhsa_float_denorm_mode_32 3
		.amdhsa_float_denorm_mode_16_64 3
		.amdhsa_dx10_clamp 1
		.amdhsa_ieee_mode 1
		.amdhsa_fp16_overflow 0
		.amdhsa_exception_fp_ieee_invalid_op 0
		.amdhsa_exception_fp_denorm_src 0
		.amdhsa_exception_fp_ieee_div_zero 0
		.amdhsa_exception_fp_ieee_overflow 0
		.amdhsa_exception_fp_ieee_underflow 0
		.amdhsa_exception_fp_ieee_inexact 0
		.amdhsa_exception_int_div_zero 0
	.end_amdhsa_kernel
	.text
.Lfunc_end0:
	.size	bluestein_single_back_len1144_dim1_sp_op_CI_CI, .Lfunc_end0-bluestein_single_back_len1144_dim1_sp_op_CI_CI
                                        ; -- End function
	.section	.AMDGPU.csdata,"",@progbits
; Kernel info:
; codeLenInByte = 16376
; NumSgprs: 24
; NumVgprs: 216
; ScratchSize: 0
; MemoryBound: 0
; FloatMode: 240
; IeeeMode: 1
; LDSByteSize: 9152 bytes/workgroup (compile time only)
; SGPRBlocks: 2
; VGPRBlocks: 53
; NumSGPRsForWavesPerEU: 24
; NumVGPRsForWavesPerEU: 216
; Occupancy: 1
; WaveLimiterHint : 1
; COMPUTE_PGM_RSRC2:SCRATCH_EN: 0
; COMPUTE_PGM_RSRC2:USER_SGPR: 6
; COMPUTE_PGM_RSRC2:TRAP_HANDLER: 0
; COMPUTE_PGM_RSRC2:TGID_X_EN: 1
; COMPUTE_PGM_RSRC2:TGID_Y_EN: 0
; COMPUTE_PGM_RSRC2:TGID_Z_EN: 0
; COMPUTE_PGM_RSRC2:TIDIG_COMP_CNT: 0
	.type	__hip_cuid_9c6436e23076106f,@object ; @__hip_cuid_9c6436e23076106f
	.section	.bss,"aw",@nobits
	.globl	__hip_cuid_9c6436e23076106f
__hip_cuid_9c6436e23076106f:
	.byte	0                               ; 0x0
	.size	__hip_cuid_9c6436e23076106f, 1

	.ident	"AMD clang version 19.0.0git (https://github.com/RadeonOpenCompute/llvm-project roc-6.4.0 25133 c7fe45cf4b819c5991fe208aaa96edf142730f1d)"
	.section	".note.GNU-stack","",@progbits
	.addrsig
	.addrsig_sym __hip_cuid_9c6436e23076106f
	.amdgpu_metadata
---
amdhsa.kernels:
  - .args:
      - .actual_access:  read_only
        .address_space:  global
        .offset:         0
        .size:           8
        .value_kind:     global_buffer
      - .actual_access:  read_only
        .address_space:  global
        .offset:         8
        .size:           8
        .value_kind:     global_buffer
      - .actual_access:  read_only
        .address_space:  global
        .offset:         16
        .size:           8
        .value_kind:     global_buffer
      - .actual_access:  read_only
        .address_space:  global
        .offset:         24
        .size:           8
        .value_kind:     global_buffer
      - .actual_access:  read_only
        .address_space:  global
        .offset:         32
        .size:           8
        .value_kind:     global_buffer
      - .offset:         40
        .size:           8
        .value_kind:     by_value
      - .address_space:  global
        .offset:         48
        .size:           8
        .value_kind:     global_buffer
      - .address_space:  global
        .offset:         56
        .size:           8
        .value_kind:     global_buffer
      - .address_space:  global
        .offset:         64
        .size:           8
        .value_kind:     global_buffer
      - .address_space:  global
        .offset:         72
        .size:           8
        .value_kind:     global_buffer
      - .offset:         80
        .size:           4
        .value_kind:     by_value
      - .address_space:  global
        .offset:         88
        .size:           8
        .value_kind:     global_buffer
      - .address_space:  global
        .offset:         96
        .size:           8
        .value_kind:     global_buffer
    .group_segment_fixed_size: 9152
    .kernarg_segment_align: 8
    .kernarg_segment_size: 104
    .language:       OpenCL C
    .language_version:
      - 2
      - 0
    .max_flat_workgroup_size: 104
    .name:           bluestein_single_back_len1144_dim1_sp_op_CI_CI
    .private_segment_fixed_size: 0
    .sgpr_count:     24
    .sgpr_spill_count: 0
    .symbol:         bluestein_single_back_len1144_dim1_sp_op_CI_CI.kd
    .uniform_work_group_size: 1
    .uses_dynamic_stack: false
    .vgpr_count:     216
    .vgpr_spill_count: 0
    .wavefront_size: 64
amdhsa.target:   amdgcn-amd-amdhsa--gfx906
amdhsa.version:
  - 1
  - 2
...

	.end_amdgpu_metadata
